;; amdgpu-corpus repo=ROCm/rocFFT kind=compiled arch=gfx1201 opt=O3
	.text
	.amdgcn_target "amdgcn-amd-amdhsa--gfx1201"
	.amdhsa_code_object_version 6
	.protected	bluestein_single_back_len650_dim1_dp_op_CI_CI ; -- Begin function bluestein_single_back_len650_dim1_dp_op_CI_CI
	.globl	bluestein_single_back_len650_dim1_dp_op_CI_CI
	.p2align	8
	.type	bluestein_single_back_len650_dim1_dp_op_CI_CI,@function
bluestein_single_back_len650_dim1_dp_op_CI_CI: ; @bluestein_single_back_len650_dim1_dp_op_CI_CI
; %bb.0:
	s_load_b128 s[16:19], s[0:1], 0x28
	v_mul_u32_u24_e32 v1, 0x3f1, v0
	s_mov_b32 s2, exec_lo
	s_delay_alu instid0(VALU_DEP_1) | instskip(NEXT) | instid1(VALU_DEP_1)
	v_lshrrev_b32_e32 v1, 16, v1
	v_mad_co_u64_u32 v[140:141], null, ttmp9, 3, v[1:2]
	v_mov_b32_e32 v141, 0
	s_wait_kmcnt 0x0
	s_delay_alu instid0(VALU_DEP_1)
	v_cmpx_gt_u64_e64 s[16:17], v[140:141]
	s_cbranch_execz .LBB0_10
; %bb.1:
	s_clause 0x1
	s_load_b128 s[4:7], s[0:1], 0x18
	s_load_b128 s[8:11], s[0:1], 0x0
	v_mul_lo_u16 v1, 0x41, v1
	s_mov_b32 s17, 0xbfee6f0e
	s_mov_b32 s20, 0x9b97f4a8
	;; [unrolled: 1-line block ×3, first 2 shown]
	s_delay_alu instid0(VALU_DEP_1) | instskip(NEXT) | instid1(VALU_DEP_1)
	v_sub_nc_u16 v0, v0, v1
	v_and_b32_e32 v9, 0xffff, v0
	s_wait_kmcnt 0x0
	s_load_b128 s[12:15], s[4:5], 0x0
	s_wait_kmcnt 0x0
	s_delay_alu instid0(VALU_DEP_1) | instskip(SKIP_2) | instid1(VALU_DEP_2)
	v_mad_co_u64_u32 v[5:6], null, s12, v9, 0
	v_mad_co_u64_u32 v[1:2], null, s14, v140, 0
	s_mul_u64 s[2:3], s[12:13], 0x410
	v_mov_b32_e32 v3, v6
	s_delay_alu instid0(VALU_DEP_1) | instskip(SKIP_2) | instid1(VALU_DEP_1)
	v_mad_co_u64_u32 v[6:7], null, s15, v140, v[2:3]
	s_mov_b32 s15, 0xbfe2cf23
	v_add_nc_u16 v7, v0, 0x41
	v_and_b32_e32 v8, 0xff, v7
	s_delay_alu instid0(VALU_DEP_3) | instskip(SKIP_3) | instid1(VALU_DEP_3)
	v_mov_b32_e32 v2, v6
	v_mad_co_u64_u32 v[3:4], null, s13, v9, v[3:4]
	v_lshlrev_b32_e32 v4, 4, v9
	s_mov_b32 s12, 0x134454ff
	v_lshlrev_b64_e32 v[1:2], 4, v[1:2]
	s_clause 0x1
	global_load_b128 v[10:13], v4, s[8:9]
	global_load_b128 v[14:17], v4, s[8:9] offset:1040
	v_mov_b32_e32 v6, v3
	s_clause 0x1
	global_load_b128 v[18:21], v4, s[8:9] offset:2080
	global_load_b128 v[22:25], v4, s[8:9] offset:3120
	v_add_co_u32 v1, vcc_lo, s18, v1
	v_add_co_ci_u32_e32 v2, vcc_lo, s19, v2, vcc_lo
	v_lshlrev_b64_e32 v[5:6], 4, v[5:6]
	s_clause 0x3
	global_load_b128 v[26:29], v4, s[8:9] offset:4160
	global_load_b128 v[116:119], v4, s[8:9] offset:5200
	;; [unrolled: 1-line block ×4, first 2 shown]
	v_mul_hi_u32 v3, 0xaaaaaaab, v140
	s_mov_b32 s13, 0x3fee6f0e
	s_wait_alu 0xfffe
	s_mov_b32 s16, s12
	v_add_co_u32 v1, vcc_lo, v1, v5
	s_wait_alu 0xfffd
	v_add_co_ci_u32_e32 v2, vcc_lo, v2, v6, vcc_lo
	s_mov_b32 s18, 0x372fe950
	s_delay_alu instid0(VALU_DEP_2) | instskip(SKIP_1) | instid1(VALU_DEP_2)
	v_add_co_u32 v5, vcc_lo, v1, s2
	s_wait_alu 0xfffd
	v_add_co_ci_u32_e32 v6, vcc_lo, s3, v2, vcc_lo
	global_load_b128 v[40:43], v[1:2], off
	v_add_co_u32 v32, vcc_lo, v5, s2
	s_wait_alu 0xfffd
	v_add_co_ci_u32_e32 v33, vcc_lo, s3, v6, vcc_lo
	s_clause 0x1
	global_load_b128 v[44:47], v[5:6], off
	global_load_b128 v[48:51], v[32:33], off
	v_add_co_u32 v34, vcc_lo, v32, s2
	s_wait_alu 0xfffd
	v_add_co_ci_u32_e32 v35, vcc_lo, s3, v33, vcc_lo
	v_lshrrev_b32_e32 v3, 1, v3
	s_delay_alu instid0(VALU_DEP_3) | instskip(SKIP_1) | instid1(VALU_DEP_3)
	v_add_co_u32 v36, vcc_lo, v34, s2
	s_wait_alu 0xfffd
	v_add_co_ci_u32_e32 v37, vcc_lo, s3, v35, vcc_lo
	s_clause 0x1
	global_load_b128 v[52:55], v[34:35], off
	global_load_b128 v[56:59], v[36:37], off
	v_add_co_u32 v1, vcc_lo, v36, s2
	s_wait_alu 0xfffd
	v_add_co_ci_u32_e32 v2, vcc_lo, s3, v37, vcc_lo
	s_mov_b32 s19, 0x3fd3c6ef
	s_delay_alu instid0(VALU_DEP_2) | instskip(SKIP_1) | instid1(VALU_DEP_2)
	v_add_co_u32 v5, vcc_lo, v1, s2
	s_wait_alu 0xfffd
	v_add_co_ci_u32_e32 v6, vcc_lo, s3, v2, vcc_lo
	global_load_b128 v[60:63], v[1:2], off
	v_add_co_u32 v32, vcc_lo, v5, s2
	s_wait_alu 0xfffd
	v_add_co_ci_u32_e32 v33, vcc_lo, s3, v6, vcc_lo
	global_load_b128 v[64:67], v[5:6], off
	v_add_co_u32 v1, vcc_lo, v32, s2
	s_wait_alu 0xfffd
	v_add_co_ci_u32_e32 v2, vcc_lo, s3, v33, vcc_lo
	s_delay_alu instid0(VALU_DEP_2) | instskip(SKIP_1) | instid1(VALU_DEP_2)
	v_add_co_u32 v5, vcc_lo, v1, s2
	s_wait_alu 0xfffd
	v_add_co_ci_u32_e32 v6, vcc_lo, s3, v2, vcc_lo
	global_load_b128 v[68:71], v[32:33], off
	global_load_b128 v[72:75], v[1:2], off
	s_clause 0x1
	global_load_b128 v[30:33], v4, s[8:9] offset:8320
	global_load_b128 v[34:37], v4, s[8:9] offset:9360
	global_load_b128 v[76:79], v[5:6], off
	s_load_b128 s[4:7], s[6:7], 0x0
	s_mov_b32 s2, 0x4755a5e
	s_mov_b32 s3, 0x3fe2cf23
	s_wait_alu 0xfffe
	s_mov_b32 s14, s2
	v_cmp_gt_u16_e32 vcc_lo, 50, v0
	s_wait_loadcnt 0x13
	scratch_store_b128 off, v[10:13], off offset:4 ; 16-byte Folded Spill
	s_wait_loadcnt 0x12
	scratch_store_b128 off, v[14:17], off offset:20 ; 16-byte Folded Spill
	;; [unrolled: 2-line block ×8, first 2 shown]
	s_wait_loadcnt 0xb
	v_mul_f64_e32 v[1:2], v[42:43], v[12:13]
	v_mul_f64_e32 v[5:6], v[40:41], v[12:13]
	s_wait_loadcnt 0xa
	v_mul_f64_e32 v[80:81], v[46:47], v[16:17]
	v_mul_f64_e32 v[82:83], v[44:45], v[16:17]
	;; [unrolled: 3-line block ×7, first 2 shown]
	v_fma_f64 v[40:41], v[40:41], v[10:11], v[1:2]
	v_fma_f64 v[42:43], v[42:43], v[10:11], -v[5:6]
	s_wait_loadcnt 0x4
	v_mul_f64_e32 v[104:105], v[70:71], v[126:127]
	v_mul_f64_e32 v[106:107], v[68:69], v[126:127]
	s_wait_loadcnt 0x2
	v_mul_f64_e32 v[108:109], v[74:75], v[32:33]
	v_mul_f64_e32 v[110:111], v[72:73], v[32:33]
	;; [unrolled: 3-line block ×3, first 2 shown]
	v_fma_f64 v[44:45], v[44:45], v[14:15], v[80:81]
	v_fma_f64 v[46:47], v[46:47], v[14:15], -v[82:83]
	v_fma_f64 v[48:49], v[48:49], v[18:19], v[84:85]
	v_fma_f64 v[50:51], v[50:51], v[18:19], -v[86:87]
	v_lshl_add_u32 v1, v3, 1, v3
	s_clause 0x1
	scratch_store_b128 off, v[30:33], off offset:132
	scratch_store_b128 off, v[34:37], off offset:152
	v_and_b32_e32 v3, 0xff, v0
	v_sub_nc_u32_e32 v1, v140, v1
	v_fma_f64 v[52:53], v[52:53], v[22:23], v[88:89]
	v_fma_f64 v[54:55], v[54:55], v[22:23], -v[90:91]
	v_fma_f64 v[56:57], v[56:57], v[26:27], v[92:93]
	v_fma_f64 v[58:59], v[58:59], v[26:27], -v[94:95]
	v_mul_u32_u24_e32 v1, 0x28a, v1
	v_mul_lo_u16 v3, 0xcd, v3
	s_delay_alu instid0(VALU_DEP_2) | instskip(NEXT) | instid1(VALU_DEP_2)
	v_lshlrev_b32_e32 v10, 4, v1
	v_lshrrev_b16 v3, 11, v3
	v_fma_f64 v[60:61], v[60:61], v[116:117], v[96:97]
	v_fma_f64 v[62:63], v[62:63], v[116:117], -v[98:99]
	s_delay_alu instid0(VALU_DEP_4)
	v_add_nc_u32_e32 v255, v4, v10
	v_fma_f64 v[64:65], v[64:65], v[120:121], v[100:101]
	v_fma_f64 v[66:67], v[66:67], v[120:121], -v[102:103]
	v_fma_f64 v[68:69], v[68:69], v[124:125], v[104:105]
	v_fma_f64 v[70:71], v[70:71], v[124:125], -v[106:107]
	;; [unrolled: 2-line block ×4, first 2 shown]
	ds_store_b128 v255, v[40:43]
	ds_store_b128 v255, v[44:47] offset:1040
	ds_store_b128 v255, v[48:51] offset:2080
	;; [unrolled: 1-line block ×9, first 2 shown]
	global_wb scope:SCOPE_SE
	s_wait_storecnt_dscnt 0x0
	s_wait_kmcnt 0x0
	s_barrier_signal -1
	s_barrier_wait -1
	global_inv scope:SCOPE_SE
	ds_load_b128 v[40:43], v255 offset:3120
	ds_load_b128 v[44:47], v255 offset:5200
	;; [unrolled: 1-line block ×5, first 2 shown]
	s_wait_dscnt 0x3
	v_add_f64_e64 v[100:101], v[40:41], -v[44:45]
	s_wait_dscnt 0x2
	v_add_f64_e32 v[1:2], v[44:45], v[48:49]
	s_wait_dscnt 0x1
	v_add_f64_e32 v[5:6], v[42:43], v[54:55]
	v_add_f64_e32 v[60:61], v[40:41], v[52:53]
	;; [unrolled: 1-line block ×3, first 2 shown]
	v_add_f64_e64 v[80:81], v[42:43], -v[54:55]
	v_add_f64_e64 v[84:85], v[44:45], -v[48:49]
	;; [unrolled: 1-line block ×11, first 2 shown]
	s_wait_dscnt 0x0
	v_add_f64_e32 v[40:41], v[56:57], v[40:41]
	v_add_f64_e32 v[42:43], v[58:59], v[42:43]
	v_fma_f64 v[1:2], v[1:2], -0.5, v[56:57]
	v_fma_f64 v[5:6], v[5:6], -0.5, v[58:59]
	;; [unrolled: 1-line block ×4, first 2 shown]
	ds_load_b128 v[60:63], v255 offset:2080
	ds_load_b128 v[64:67], v255 offset:4160
	;; [unrolled: 1-line block ×4, first 2 shown]
	ds_load_b128 v[76:79], v255
	global_wb scope:SCOPE_SE
	s_wait_dscnt 0x0
	s_barrier_signal -1
	s_barrier_wait -1
	global_inv scope:SCOPE_SE
	v_add_f64_e32 v[40:41], v[40:41], v[44:45]
	v_add_f64_e32 v[42:43], v[42:43], v[46:47]
	;; [unrolled: 1-line block ×8, first 2 shown]
	v_add_f64_e64 v[126:127], v[62:63], -v[74:75]
	v_add_f64_e64 v[128:129], v[66:67], -v[70:71]
	;; [unrolled: 1-line block ×4, first 2 shown]
	v_fma_f64 v[114:115], v[80:81], s[12:13], v[1:2]
	v_fma_f64 v[116:117], v[84:85], s[12:13], v[5:6]
	;; [unrolled: 1-line block ×8, first 2 shown]
	v_add_f64_e32 v[40:41], v[40:41], v[48:49]
	v_add_f64_e32 v[42:43], v[42:43], v[50:51]
	v_fma_f64 v[56:57], v[92:93], -0.5, v[76:77]
	v_fma_f64 v[76:77], v[94:95], -0.5, v[76:77]
	;; [unrolled: 1-line block ×4, first 2 shown]
	v_add_f64_e32 v[94:95], v[100:101], v[102:103]
	v_add_f64_e32 v[98:99], v[108:109], v[110:111]
	;; [unrolled: 1-line block ×3, first 2 shown]
	v_add_f64_e64 v[110:111], v[62:63], -v[66:67]
	v_add_f64_e64 v[62:63], v[66:67], -v[62:63]
	v_add_f64_e32 v[66:67], v[130:131], v[66:67]
	v_add_f64_e64 v[106:107], v[72:73], -v[68:69]
	v_add_f64_e64 v[108:109], v[68:69], -v[72:73]
	v_fma_f64 v[100:101], v[82:83], s[2:3], v[114:115]
	s_wait_alu 0xfffe
	v_fma_f64 v[102:103], v[88:89], s[14:15], v[116:117]
	v_fma_f64 v[104:105], v[80:81], s[14:15], v[118:119]
	;; [unrolled: 1-line block ×5, first 2 shown]
	v_add_f64_e32 v[82:83], v[112:113], v[120:121]
	v_fma_f64 v[86:87], v[84:85], s[2:3], v[122:123]
	v_add_f64_e64 v[88:89], v[60:61], -v[64:65]
	v_add_f64_e64 v[60:61], v[64:65], -v[60:61]
	v_add_f64_e32 v[64:65], v[124:125], v[64:65]
	v_add_f64_e64 v[112:113], v[74:75], -v[70:71]
	v_add_f64_e64 v[114:115], v[70:71], -v[74:75]
	v_fma_f64 v[84:85], v[84:85], s[14:15], v[90:91]
	v_add_f64_e32 v[52:53], v[40:41], v[52:53]
	v_add_f64_e32 v[54:55], v[42:43], v[54:55]
	v_fma_f64 v[44:45], v[126:127], s[12:13], v[56:57]
	v_fma_f64 v[46:47], v[126:127], s[16:17], v[56:57]
	;; [unrolled: 1-line block ×8, first 2 shown]
	v_add_f64_e32 v[66:67], v[66:67], v[70:71]
	v_fma_f64 v[90:91], v[94:95], s[18:19], v[100:101]
	v_fma_f64 v[100:101], v[98:99], s[18:19], v[102:103]
	;; [unrolled: 1-line block ×7, first 2 shown]
	v_add_f64_e32 v[88:89], v[88:89], v[106:107]
	v_add_f64_e32 v[60:61], v[60:61], v[108:109]
	;; [unrolled: 1-line block ×5, first 2 shown]
	v_fma_f64 v[44:45], v[128:129], s[2:3], v[44:45]
	v_fma_f64 v[46:47], v[128:129], s[14:15], v[46:47]
	;; [unrolled: 1-line block ×9, first 2 shown]
	v_add_f64_e32 v[66:67], v[66:67], v[74:75]
	v_mul_f64_e32 v[78:79], s[20:21], v[90:91]
	v_mul_f64_e32 v[82:83], s[12:13], v[100:101]
	;; [unrolled: 1-line block ×8, first 2 shown]
	v_add_f64_e32 v[64:65], v[64:65], v[72:73]
	v_fma_f64 v[72:73], v[88:89], s[18:19], v[44:45]
	v_fma_f64 v[74:75], v[88:89], s[18:19], v[46:47]
	v_fma_f64 v[88:89], v[60:61], s[18:19], v[48:49]
	v_fma_f64 v[106:107], v[60:61], s[18:19], v[50:51]
	v_fma_f64 v[108:109], v[94:95], s[18:19], v[56:57]
	v_fma_f64 v[110:111], v[62:63], s[18:19], v[68:69]
	v_fma_f64 v[112:113], v[62:63], s[18:19], v[70:71]
	v_fma_f64 v[94:95], v[94:95], s[18:19], v[58:59]
	v_add_f64_e32 v[42:43], v[66:67], v[54:55]
	v_add_f64_e64 v[46:47], v[66:67], -v[54:55]
	v_fma_f64 v[68:69], v[76:77], s[2:3], v[78:79]
	v_fma_f64 v[70:71], v[80:81], s[18:19], v[82:83]
	;; [unrolled: 1-line block ×4, first 2 shown]
	v_fma_f64 v[5:6], v[5:6], s[12:13], -v[84:85]
	v_fma_f64 v[84:85], v[102:103], s[16:17], -v[98:99]
	;; [unrolled: 1-line block ×4, first 2 shown]
	v_add_f64_e32 v[40:41], v[64:65], v[52:53]
	v_add_f64_e64 v[44:45], v[64:65], -v[52:53]
	v_add_f64_e32 v[48:49], v[72:73], v[68:69]
	v_add_f64_e32 v[52:53], v[88:89], v[70:71]
	;; [unrolled: 1-line block ×8, first 2 shown]
	v_add_f64_e64 v[64:65], v[72:73], -v[68:69]
	v_add_f64_e64 v[66:67], v[108:109], -v[80:81]
	;; [unrolled: 1-line block ×8, first 2 shown]
	v_mul_lo_u16 v1, 0xcd, v8
	v_mul_lo_u16 v2, v3, 10
	s_delay_alu instid0(VALU_DEP_2) | instskip(NEXT) | instid1(VALU_DEP_2)
	v_lshrrev_b16 v5, 11, v1
	v_sub_nc_u16 v2, v0, v2
	v_mul_lo_u16 v1, v0, 10
	s_delay_alu instid0(VALU_DEP_3) | instskip(NEXT) | instid1(VALU_DEP_3)
	v_mul_lo_u16 v6, v5, 10
	v_and_b32_e32 v8, 0xff, v2
	s_delay_alu instid0(VALU_DEP_3) | instskip(NEXT) | instid1(VALU_DEP_3)
	v_and_b32_e32 v1, 0xffff, v1
	v_sub_nc_u16 v2, v7, v6
	s_delay_alu instid0(VALU_DEP_2) | instskip(NEXT) | instid1(VALU_DEP_4)
	v_lshl_add_u32 v6, v1, 4, v10
	v_lshlrev_b32_e32 v1, 6, v8
	ds_store_b128 v6, v[40:43]
	ds_store_b128 v6, v[48:51] offset:16
	ds_store_b128 v6, v[52:55] offset:32
	;; [unrolled: 1-line block ×9, first 2 shown]
	v_and_b32_e32 v7, 0xff, v2
	global_wb scope:SCOPE_SE
	s_wait_dscnt 0x0
	s_barrier_signal -1
	s_barrier_wait -1
	global_inv scope:SCOPE_SE
	v_lshlrev_b32_e32 v2, 6, v7
	s_clause 0x7
	global_load_b128 v[60:63], v1, s[10:11]
	global_load_b128 v[52:55], v1, s[10:11] offset:16
	global_load_b128 v[48:51], v1, s[10:11] offset:32
	;; [unrolled: 1-line block ×3, first 2 shown]
	global_load_b128 v[64:67], v2, s[10:11]
	global_load_b128 v[76:79], v2, s[10:11] offset:16
	global_load_b128 v[72:75], v2, s[10:11] offset:32
	;; [unrolled: 1-line block ×3, first 2 shown]
	ds_load_b128 v[40:43], v255 offset:2080
	ds_load_b128 v[44:47], v255 offset:4160
	;; [unrolled: 1-line block ×8, first 2 shown]
	scratch_store_b32 off, v10, off offset:148 ; 4-byte Folded Spill
	s_wait_loadcnt_dscnt 0x707
	v_mul_f64_e32 v[1:2], v[42:43], v[62:63]
	s_wait_loadcnt_dscnt 0x606
	v_mul_f64_e32 v[104:105], v[46:47], v[54:55]
	;; [unrolled: 2-line block ×3, first 2 shown]
	v_mul_f64_e32 v[108:109], v[40:41], v[62:63]
	s_wait_loadcnt_dscnt 0x404
	v_mul_f64_e32 v[110:111], v[86:87], v[58:59]
	v_mul_f64_e32 v[112:113], v[44:45], v[54:55]
	;; [unrolled: 1-line block ×4, first 2 shown]
	s_wait_loadcnt_dscnt 0x303
	v_mul_f64_e32 v[118:119], v[90:91], v[66:67]
	s_wait_loadcnt_dscnt 0x202
	v_mul_f64_e32 v[120:121], v[94:95], v[78:79]
	;; [unrolled: 2-line block ×3, first 2 shown]
	v_mul_f64_e32 v[124:125], v[92:93], v[78:79]
	s_wait_loadcnt_dscnt 0x0
	v_mul_f64_e32 v[126:127], v[102:103], v[70:71]
	v_mul_f64_e32 v[128:129], v[96:97], v[74:75]
	;; [unrolled: 1-line block ×4, first 2 shown]
	v_fma_f64 v[1:2], v[40:41], v[60:61], -v[1:2]
	v_fma_f64 v[104:105], v[44:45], v[52:53], -v[104:105]
	;; [unrolled: 1-line block ×3, first 2 shown]
	v_fma_f64 v[106:107], v[42:43], v[60:61], v[108:109]
	v_fma_f64 v[84:85], v[84:85], v[56:57], -v[110:111]
	v_fma_f64 v[108:109], v[46:47], v[52:53], v[112:113]
	v_fma_f64 v[82:83], v[82:83], v[48:49], v[114:115]
	;; [unrolled: 1-line block ×3, first 2 shown]
	v_fma_f64 v[88:89], v[88:89], v[64:65], -v[118:119]
	v_fma_f64 v[92:93], v[92:93], v[76:77], -v[120:121]
	v_fma_f64 v[96:97], v[96:97], v[72:73], -v[122:123]
	v_fma_f64 v[94:95], v[94:95], v[76:77], v[124:125]
	v_fma_f64 v[100:101], v[100:101], v[68:69], -v[126:127]
	v_fma_f64 v[98:99], v[98:99], v[72:73], v[128:129]
	v_fma_f64 v[90:91], v[90:91], v[64:65], v[130:131]
	;; [unrolled: 1-line block ×3, first 2 shown]
	ds_load_b128 v[40:43], v255
	ds_load_b128 v[44:47], v255 offset:1040
	global_wb scope:SCOPE_SE
	s_wait_storecnt_dscnt 0x0
	s_barrier_signal -1
	s_barrier_wait -1
	global_inv scope:SCOPE_SE
	v_add_f64_e32 v[126:127], v[40:41], v[1:2]
	v_add_f64_e32 v[110:111], v[104:105], v[80:81]
	;; [unrolled: 1-line block ×4, first 2 shown]
	v_add_f64_e64 v[138:139], v[1:2], -v[84:85]
	v_add_f64_e32 v[114:115], v[108:109], v[82:83]
	v_add_f64_e32 v[116:117], v[106:107], v[86:87]
	v_add_f64_e64 v[128:129], v[106:107], -v[86:87]
	v_add_f64_e64 v[130:131], v[108:109], -v[82:83]
	v_add_f64_e32 v[118:119], v[92:93], v[96:97]
	v_add_f64_e32 v[134:135], v[44:45], v[88:89]
	;; [unrolled: 1-line block ×6, first 2 shown]
	v_add_f64_e64 v[141:142], v[90:91], -v[102:103]
	v_add_f64_e64 v[143:144], v[88:89], -v[100:101]
	;; [unrolled: 1-line block ×16, first 2 shown]
	v_fma_f64 v[110:111], v[110:111], -0.5, v[40:41]
	v_add_f64_e32 v[108:109], v[132:133], v[108:109]
	v_fma_f64 v[40:41], v[112:113], -0.5, v[40:41]
	v_add_f64_e64 v[112:113], v[104:105], -v[80:81]
	v_fma_f64 v[114:115], v[114:115], -0.5, v[42:43]
	v_fma_f64 v[42:43], v[116:117], -0.5, v[42:43]
	v_add_f64_e64 v[116:117], v[94:95], -v[98:99]
	v_fma_f64 v[118:119], v[118:119], -0.5, v[44:45]
	;; [unrolled: 3-line block ×3, first 2 shown]
	v_fma_f64 v[46:47], v[124:125], -0.5, v[46:47]
	v_add_f64_e64 v[124:125], v[1:2], -v[104:105]
	v_add_f64_e64 v[1:2], v[104:105], -v[1:2]
	v_add_f64_e32 v[104:105], v[126:127], v[104:105]
	v_add_f64_e32 v[92:93], v[134:135], v[92:93]
	;; [unrolled: 1-line block ×5, first 2 shown]
	v_fma_f64 v[126:127], v[128:129], s[12:13], v[110:111]
	v_fma_f64 v[110:111], v[128:129], s[16:17], v[110:111]
	;; [unrolled: 1-line block ×16, first 2 shown]
	v_add_f64_e32 v[124:125], v[124:125], v[145:146]
	v_add_f64_e32 v[1:2], v[1:2], v[147:148]
	;; [unrolled: 1-line block ×10, first 2 shown]
	v_fma_f64 v[92:93], v[130:131], s[2:3], v[126:127]
	v_fma_f64 v[94:95], v[130:131], s[14:15], v[110:111]
	;; [unrolled: 1-line block ×16, first 2 shown]
	s_load_b64 s[2:3], s[0:1], 0x38
	v_add_co_u32 v239, s0, s8, v4
	s_wait_alu 0xf1ff
	v_add_co_ci_u32_e64 v240, null, s9, 0, s0
	v_add_f64_e32 v[132:133], v[80:81], v[84:85]
	v_add_f64_e32 v[134:135], v[82:83], v[86:87]
	;; [unrolled: 1-line block ×4, first 2 shown]
                                        ; implicit-def: $vgpr100_vgpr101
	v_fma_f64 v[40:41], v[124:125], s[18:19], v[92:93]
	v_fma_f64 v[108:109], v[124:125], s[18:19], v[94:95]
	;; [unrolled: 1-line block ×16, first 2 shown]
	v_and_b32_e32 v1, 0xffff, v3
	v_and_b32_e32 v2, 0xffff, v5
                                        ; implicit-def: $vgpr120_vgpr121
                                        ; implicit-def: $vgpr96_vgpr97
	s_delay_alu instid0(VALU_DEP_2) | instskip(NEXT) | instid1(VALU_DEP_2)
	v_mul_u32_u24_e32 v1, 50, v1
	v_mul_u32_u24_e32 v2, 50, v2
	s_delay_alu instid0(VALU_DEP_2) | instskip(NEXT) | instid1(VALU_DEP_2)
	v_add_nc_u32_e32 v0, v1, v8
	v_add_nc_u32_e32 v1, v2, v7
	s_delay_alu instid0(VALU_DEP_2) | instskip(NEXT) | instid1(VALU_DEP_2)
	v_lshl_add_u32 v7, v0, 4, v10
	v_lshl_add_u32 v5, v1, 4, v10
	ds_store_b128 v7, v[132:135]
	ds_store_b128 v7, v[40:43] offset:160
	ds_store_b128 v7, v[88:91] offset:320
	;; [unrolled: 1-line block ×4, first 2 shown]
	ds_store_b128 v5, v[112:115]
	ds_store_b128 v5, v[104:107] offset:160
	ds_store_b128 v5, v[124:127] offset:320
	;; [unrolled: 1-line block ×4, first 2 shown]
	global_wb scope:SCOPE_SE
	s_wait_dscnt 0x0
	s_wait_kmcnt 0x0
	s_barrier_signal -1
	s_barrier_wait -1
	global_inv scope:SCOPE_SE
	s_and_saveexec_b32 s0, vcc_lo
	s_cbranch_execz .LBB0_3
; %bb.2:
	ds_load_b128 v[132:135], v255
	ds_load_b128 v[40:43], v255 offset:800
	ds_load_b128 v[88:91], v255 offset:1600
	;; [unrolled: 1-line block ×12, first 2 shown]
.LBB0_3:
	s_wait_alu 0xfffe
	s_or_b32 exec_lo, exec_lo, s0
	v_subrev_nc_u32_e32 v0, 50, v9
	scratch_store_b32 off, v9, off          ; 4-byte Folded Spill
	s_mov_b32 s14, 0x4267c47c
	s_mov_b32 s15, 0xbfddbe06
	;; [unrolled: 1-line block ×3, first 2 shown]
	v_cndmask_b32_e32 v0, v0, v9, vcc_lo
	s_mov_b32 s13, 0xbfea55e2
	s_mov_b32 s20, 0x66966769
	;; [unrolled: 1-line block ×4, first 2 shown]
	v_mul_i32_i24_e32 v1, 0xc0, v0
	v_mul_hi_i32_i24_e32 v2, 0xc0, v0
	s_mov_b32 s17, 0x3fbedb7d
	s_mov_b32 s24, 0x2ef20147
	;; [unrolled: 1-line block ×3, first 2 shown]
	v_add_co_u32 v0, s0, s10, v1
	s_wait_alu 0xf1ff
	v_add_co_ci_u32_e64 v1, s0, s11, v2, s0
	s_mov_b32 s10, 0xe00740e9
	s_mov_b32 s11, 0x3fec55a7
	s_mov_b32 s0, 0x1ea71119
	s_clause 0x1
	global_load_b128 v[44:47], v[0:1], off offset:640
	global_load_b128 v[80:83], v[0:1], off offset:656
	s_mov_b32 s1, 0x3fe22d96
	s_mov_b32 s18, 0xb2365da1
	;; [unrolled: 1-line block ×14, first 2 shown]
	s_wait_alu 0xfffe
	s_mov_b32 s36, s20
	s_mov_b32 s39, 0x3fddbe06
	;; [unrolled: 1-line block ×5, first 2 shown]
	s_wait_loadcnt_dscnt 0x10b
	v_mul_f64_e32 v[2:3], v[42:43], v[46:47]
	s_delay_alu instid0(VALU_DEP_1) | instskip(SKIP_1) | instid1(VALU_DEP_1)
	v_fma_f64 v[235:236], v[40:41], v[44:45], -v[2:3]
	v_mul_f64_e32 v[2:3], v[40:41], v[46:47]
	v_fma_f64 v[231:232], v[42:43], v[44:45], v[2:3]
	s_clause 0x1
	global_load_b128 v[40:43], v[0:1], off offset:816
	global_load_b128 v[84:87], v[0:1], off offset:800
	s_wait_loadcnt_dscnt 0x100
	v_mul_f64_e32 v[2:3], v[100:101], v[42:43]
	s_delay_alu instid0(VALU_DEP_1) | instskip(SKIP_1) | instid1(VALU_DEP_2)
	v_fma_f64 v[10:11], v[102:103], v[40:41], v[2:3]
	v_mul_f64_e32 v[2:3], v[102:103], v[42:43]
	v_add_f64_e64 v[155:156], v[231:232], -v[10:11]
	s_delay_alu instid0(VALU_DEP_2) | instskip(SKIP_2) | instid1(VALU_DEP_4)
	v_fma_f64 v[12:13], v[100:101], v[40:41], -v[2:3]
	v_mul_f64_e32 v[2:3], v[90:91], v[82:83]
	v_add_f64_e32 v[157:158], v[231:232], v[10:11]
	v_mul_f64_e32 v[136:137], s[14:15], v[155:156]
	s_delay_alu instid0(VALU_DEP_4) | instskip(NEXT) | instid1(VALU_DEP_4)
	v_add_f64_e32 v[153:154], v[235:236], v[12:13]
	v_fma_f64 v[18:19], v[88:89], v[80:81], -v[2:3]
	v_mul_f64_e32 v[2:3], v[88:89], v[82:83]
	v_add_f64_e64 v[161:162], v[235:236], -v[12:13]
	v_mul_f64_e32 v[163:164], s[12:13], v[155:156]
	s_delay_alu instid0(VALU_DEP_3) | instskip(SKIP_2) | instid1(VALU_DEP_4)
	v_fma_f64 v[20:21], v[90:91], v[80:81], v[2:3]
	s_wait_loadcnt 0x0
	v_mul_f64_e32 v[2:3], v[96:97], v[86:87]
	v_mul_f64_e32 v[159:160], s[14:15], v[161:162]
	;; [unrolled: 1-line block ×3, first 2 shown]
	s_delay_alu instid0(VALU_DEP_3) | instskip(SKIP_1) | instid1(VALU_DEP_2)
	v_fma_f64 v[14:15], v[98:99], v[84:85], v[2:3]
	v_mul_f64_e32 v[2:3], v[98:99], v[86:87]
	v_add_f64_e64 v[195:196], v[20:21], -v[14:15]
	s_delay_alu instid0(VALU_DEP_2)
	v_fma_f64 v[16:17], v[96:97], v[84:85], -v[2:3]
	s_clause 0x1
	global_load_b128 v[88:91], v[0:1], off offset:672
	global_load_b128 v[96:99], v[0:1], off offset:688
	v_add_f64_e32 v[187:188], v[20:21], v[14:15]
	v_mul_f64_e32 v[181:182], s[12:13], v[195:196]
	v_add_f64_e32 v[183:184], v[18:19], v[16:17]
	v_add_f64_e64 v[197:198], v[18:19], -v[16:17]
	s_delay_alu instid0(VALU_DEP_1) | instskip(SKIP_2) | instid1(VALU_DEP_1)
	v_mul_f64_e32 v[205:206], s[12:13], v[197:198]
	s_wait_loadcnt 0x1
	v_mul_f64_e32 v[2:3], v[94:95], v[90:91]
	v_fma_f64 v[22:23], v[92:93], v[88:89], -v[2:3]
	v_mul_f64_e32 v[2:3], v[92:93], v[90:91]
	s_delay_alu instid0(VALU_DEP_1)
	v_fma_f64 v[24:25], v[94:95], v[88:89], v[2:3]
	s_clause 0x1
	global_load_b128 v[92:95], v[0:1], off offset:784
	global_load_b128 v[100:103], v[0:1], off offset:768
	s_wait_loadcnt 0x1
	v_mul_f64_e32 v[2:3], v[122:123], v[94:95]
	s_delay_alu instid0(VALU_DEP_1) | instskip(SKIP_1) | instid1(VALU_DEP_2)
	v_fma_f64 v[26:27], v[120:121], v[92:93], -v[2:3]
	v_mul_f64_e32 v[2:3], v[120:121], v[94:95]
	v_add_f64_e32 v[191:192], v[22:23], v[26:27]
	s_delay_alu instid0(VALU_DEP_2) | instskip(SKIP_2) | instid1(VALU_DEP_3)
	v_fma_f64 v[28:29], v[122:123], v[92:93], v[2:3]
	v_mul_f64_e32 v[2:3], v[110:111], v[98:99]
	v_add_f64_e64 v[217:218], v[22:23], -v[26:27]
	v_add_f64_e64 v[207:208], v[24:25], -v[28:29]
	s_delay_alu instid0(VALU_DEP_3)
	v_fma_f64 v[34:35], v[108:109], v[96:97], -v[2:3]
	v_mul_f64_e32 v[2:3], v[108:109], v[98:99]
	v_add_f64_e32 v[203:204], v[24:25], v[28:29]
	v_mul_f64_e32 v[253:254], s[20:21], v[217:218]
	v_mul_f64_e32 v[193:194], s[30:31], v[217:218]
	;; [unrolled: 1-line block ×5, first 2 shown]
	v_fma_f64 v[36:37], v[110:111], v[96:97], v[2:3]
	s_wait_loadcnt 0x0
	v_mul_f64_e32 v[2:3], v[118:119], v[102:103]
	s_delay_alu instid0(VALU_DEP_1) | instskip(SKIP_1) | instid1(VALU_DEP_2)
	v_fma_f64 v[32:33], v[116:117], v[100:101], -v[2:3]
	v_mul_f64_e32 v[2:3], v[116:117], v[102:103]
	v_add_f64_e32 v[199:200], v[34:35], v[32:33]
	s_delay_alu instid0(VALU_DEP_2)
	v_fma_f64 v[30:31], v[118:119], v[100:101], v[2:3]
	s_clause 0x1
	global_load_b128 v[108:111], v[0:1], off offset:704
	global_load_b128 v[116:119], v[0:1], off offset:720
	v_add_f64_e64 v[227:228], v[34:35], -v[32:33]
	v_add_f64_e64 v[233:234], v[36:37], -v[30:31]
	v_add_f64_e32 v[209:210], v[36:37], v[30:31]
	s_delay_alu instid0(VALU_DEP_3)
	v_mul_f64_e32 v[225:226], s[24:25], v[227:228]
	v_mul_f64_e32 v[201:202], s[34:35], v[227:228]
	;; [unrolled: 1-line block ×5, first 2 shown]
	s_wait_loadcnt 0x1
	v_mul_f64_e32 v[2:3], v[114:115], v[110:111]
	s_delay_alu instid0(VALU_DEP_1) | instskip(SKIP_1) | instid1(VALU_DEP_1)
	v_fma_f64 v[38:39], v[112:113], v[108:109], -v[2:3]
	v_mul_f64_e32 v[2:3], v[112:113], v[110:111]
	v_fma_f64 v[167:168], v[114:115], v[108:109], v[2:3]
	s_clause 0x1
	global_load_b128 v[112:115], v[0:1], off offset:752
	global_load_b128 v[120:123], v[0:1], off offset:736
	v_fma_f64 v[2:3], v[183:184], s[0:1], v[181:182]
	s_wait_loadcnt 0x1
	v_mul_f64_e32 v[0:1], v[130:131], v[114:115]
	s_delay_alu instid0(VALU_DEP_1) | instskip(SKIP_1) | instid1(VALU_DEP_2)
	v_fma_f64 v[169:170], v[128:129], v[112:113], -v[0:1]
	v_mul_f64_e32 v[0:1], v[128:129], v[114:115]
	v_add_f64_e32 v[213:214], v[38:39], v[169:170]
	s_delay_alu instid0(VALU_DEP_2) | instskip(SKIP_2) | instid1(VALU_DEP_3)
	v_fma_f64 v[171:172], v[130:131], v[112:113], v[0:1]
	v_mul_f64_e32 v[0:1], v[106:107], v[118:119]
	v_add_f64_e64 v[237:238], v[38:39], -v[169:170]
	v_add_f64_e64 v[241:242], v[167:168], -v[171:172]
	s_delay_alu instid0(VALU_DEP_3)
	v_fma_f64 v[173:174], v[104:105], v[116:117], -v[0:1]
	v_mul_f64_e32 v[0:1], v[104:105], v[118:119]
	v_fma_f64 v[104:105], v[187:188], s[0:1], -v[205:206]
	v_add_f64_e32 v[223:224], v[167:168], v[171:172]
	v_mul_f64_e32 v[138:139], s[36:37], v[237:238]
	v_mul_f64_e32 v[8:9], s[28:29], v[241:242]
	v_fma_f64 v[177:178], v[106:107], v[116:117], v[0:1]
	s_wait_loadcnt 0x0
	v_mul_f64_e32 v[0:1], v[126:127], v[122:123]
	scratch_store_b64 off, v[8:9], off offset:168 ; 8-byte Folded Spill
	v_fma_f64 v[175:176], v[124:125], v[120:121], -v[0:1]
	v_mul_f64_e32 v[0:1], v[124:125], v[122:123]
	s_delay_alu instid0(VALU_DEP_2) | instskip(NEXT) | instid1(VALU_DEP_2)
	v_add_f64_e32 v[219:220], v[173:174], v[175:176]
	v_fma_f64 v[179:180], v[126:127], v[120:121], v[0:1]
	v_fma_f64 v[0:1], v[153:154], s[10:11], v[136:137]
	v_add_f64_e64 v[243:244], v[173:174], -v[175:176]
	s_delay_alu instid0(VALU_DEP_3) | instskip(NEXT) | instid1(VALU_DEP_3)
	v_add_f64_e64 v[245:246], v[177:178], -v[179:180]
	v_add_f64_e32 v[0:1], v[132:133], v[0:1]
	v_add_f64_e32 v[229:230], v[177:178], v[179:180]
	s_delay_alu instid0(VALU_DEP_4) | instskip(SKIP_1) | instid1(VALU_DEP_4)
	v_mul_f64_e32 v[189:190], s[38:39], v[243:244]
	v_mul_f64_e32 v[185:186], s[28:29], v[243:244]
	v_add_f64_e32 v[0:1], v[2:3], v[0:1]
	v_fma_f64 v[2:3], v[157:158], s[10:11], -v[159:160]
	s_delay_alu instid0(VALU_DEP_1) | instskip(NEXT) | instid1(VALU_DEP_1)
	v_add_f64_e32 v[2:3], v[134:135], v[2:3]
	v_add_f64_e32 v[2:3], v[104:105], v[2:3]
	v_fma_f64 v[104:105], v[191:192], s[16:17], v[251:252]
	s_delay_alu instid0(VALU_DEP_1) | instskip(SKIP_1) | instid1(VALU_DEP_1)
	v_add_f64_e32 v[0:1], v[104:105], v[0:1]
	v_fma_f64 v[104:105], v[203:204], s[16:17], -v[253:254]
	v_add_f64_e32 v[2:3], v[104:105], v[2:3]
	v_fma_f64 v[104:105], v[199:200], s[18:19], v[215:216]
	s_delay_alu instid0(VALU_DEP_1) | instskip(SKIP_1) | instid1(VALU_DEP_1)
	v_add_f64_e32 v[0:1], v[104:105], v[0:1]
	v_fma_f64 v[104:105], v[209:210], s[18:19], -v[225:226]
	v_add_f64_e32 v[2:3], v[104:105], v[2:3]
	v_fma_f64 v[104:105], v[213:214], s[22:23], v[8:9]
	v_mul_f64_e32 v[8:9], s[28:29], v[237:238]
	s_delay_alu instid0(VALU_DEP_2) | instskip(SKIP_3) | instid1(VALU_DEP_2)
	v_add_f64_e32 v[0:1], v[104:105], v[0:1]
	scratch_store_b64 off, v[8:9], off offset:184 ; 8-byte Folded Spill
	v_fma_f64 v[104:105], v[223:224], s[22:23], -v[8:9]
	v_mul_f64_e32 v[8:9], s[30:31], v[245:246]
	v_add_f64_e32 v[2:3], v[104:105], v[2:3]
	s_delay_alu instid0(VALU_DEP_2) | instskip(NEXT) | instid1(VALU_DEP_1)
	v_fma_f64 v[104:105], v[219:220], s[26:27], v[8:9]
	v_add_f64_e32 v[104:105], v[104:105], v[0:1]
	v_mul_f64_e32 v[0:1], s[30:31], v[243:244]
	scratch_store_b64 off, v[8:9], off offset:176 ; 8-byte Folded Spill
	v_mul_f64_e32 v[8:9], s[24:25], v[197:198]
	scratch_store_b64 off, v[0:1], off offset:192 ; 8-byte Folded Spill
	v_fma_f64 v[0:1], v[229:230], s[26:27], -v[0:1]
	scratch_store_b64 off, v[8:9], off offset:208 ; 8-byte Folded Spill
	v_fma_f64 v[124:125], v[187:188], s[18:19], -v[8:9]
	v_mul_f64_e32 v[8:9], s[36:37], v[241:242]
	v_add_f64_e32 v[106:107], v[0:1], v[2:3]
	v_fma_f64 v[0:1], v[153:154], s[0:1], v[163:164]
	v_mul_f64_e32 v[2:3], s[24:25], v[195:196]
	scratch_store_b64 off, v[8:9], off offset:224 ; 8-byte Folded Spill
	v_add_f64_e32 v[0:1], v[132:133], v[0:1]
	scratch_store_b64 off, v[2:3], off offset:200 ; 8-byte Folded Spill
	v_fma_f64 v[2:3], v[183:184], s[18:19], v[2:3]
	s_delay_alu instid0(VALU_DEP_1) | instskip(SKIP_1) | instid1(VALU_DEP_1)
	v_add_f64_e32 v[0:1], v[2:3], v[0:1]
	v_fma_f64 v[2:3], v[157:158], s[0:1], -v[165:166]
	v_add_f64_e32 v[2:3], v[134:135], v[2:3]
	s_delay_alu instid0(VALU_DEP_1) | instskip(SKIP_1) | instid1(VALU_DEP_1)
	v_add_f64_e32 v[2:3], v[124:125], v[2:3]
	v_fma_f64 v[124:125], v[191:192], s[26:27], v[247:248]
	v_add_f64_e32 v[0:1], v[124:125], v[0:1]
	v_fma_f64 v[124:125], v[203:204], s[26:27], -v[193:194]
	s_delay_alu instid0(VALU_DEP_1) | instskip(SKIP_1) | instid1(VALU_DEP_1)
	v_add_f64_e32 v[2:3], v[124:125], v[2:3]
	v_fma_f64 v[124:125], v[199:200], s[22:23], v[249:250]
	v_add_f64_e32 v[0:1], v[124:125], v[0:1]
	v_fma_f64 v[124:125], v[209:210], s[22:23], -v[201:202]
	s_delay_alu instid0(VALU_DEP_1) | instskip(SKIP_2) | instid1(VALU_DEP_2)
	v_add_f64_e32 v[2:3], v[124:125], v[2:3]
	v_fma_f64 v[124:125], v[213:214], s[16:17], v[8:9]
	v_mul_f64_e32 v[8:9], s[38:39], v[245:246]
	v_add_f64_e32 v[0:1], v[124:125], v[0:1]
	v_fma_f64 v[124:125], v[223:224], s[16:17], -v[138:139]
	scratch_store_b64 off, v[8:9], off offset:232 ; 8-byte Folded Spill
	v_add_f64_e32 v[2:3], v[124:125], v[2:3]
	v_fma_f64 v[124:125], v[219:220], s[10:11], v[8:9]
	v_mul_f64_e32 v[8:9], s[30:31], v[195:196]
	s_delay_alu instid0(VALU_DEP_2) | instskip(SKIP_1) | instid1(VALU_DEP_3)
	v_add_f64_e32 v[124:125], v[124:125], v[0:1]
	v_fma_f64 v[0:1], v[229:230], s[10:11], -v[189:190]
	v_fma_f64 v[128:129], v[183:184], s[26:27], v[8:9]
	scratch_store_b64 off, v[8:9], off offset:216 ; 8-byte Folded Spill
	v_mul_f64_e32 v[8:9], s[30:31], v[197:198]
	v_add_f64_e32 v[126:127], v[0:1], v[2:3]
	v_mul_f64_e32 v[0:1], s[20:21], v[155:156]
	s_delay_alu instid0(VALU_DEP_3) | instskip(SKIP_3) | instid1(VALU_DEP_1)
	v_fma_f64 v[143:144], v[187:188], s[26:27], -v[8:9]
	scratch_store_b64 off, v[8:9], off offset:240 ; 8-byte Folded Spill
	v_fma_f64 v[8:9], v[229:230], s[22:23], -v[185:186]
	v_fma_f64 v[2:3], v[153:154], s[16:17], v[0:1]
	v_add_f64_e32 v[2:3], v[132:133], v[2:3]
	s_delay_alu instid0(VALU_DEP_1) | instskip(SKIP_1) | instid1(VALU_DEP_1)
	v_add_f64_e32 v[128:129], v[128:129], v[2:3]
	v_mul_f64_e32 v[2:3], s[20:21], v[161:162]
	v_fma_f64 v[130:131], v[157:158], s[16:17], -v[2:3]
	s_delay_alu instid0(VALU_DEP_1) | instskip(NEXT) | instid1(VALU_DEP_1)
	v_add_f64_e32 v[130:131], v[134:135], v[130:131]
	v_add_f64_e32 v[130:131], v[143:144], v[130:131]
	v_mul_f64_e32 v[143:144], s[40:41], v[207:208]
	s_delay_alu instid0(VALU_DEP_1) | instskip(NEXT) | instid1(VALU_DEP_1)
	v_fma_f64 v[145:146], v[191:192], s[18:19], v[143:144]
	v_add_f64_e32 v[128:129], v[145:146], v[128:129]
	v_fma_f64 v[145:146], v[203:204], s[18:19], -v[141:142]
	s_delay_alu instid0(VALU_DEP_1) | instskip(SKIP_1) | instid1(VALU_DEP_1)
	v_add_f64_e32 v[130:131], v[145:146], v[130:131]
	v_mul_f64_e32 v[145:146], s[38:39], v[233:234]
	v_fma_f64 v[147:148], v[199:200], s[10:11], v[145:146]
	s_delay_alu instid0(VALU_DEP_1) | instskip(SKIP_1) | instid1(VALU_DEP_1)
	v_add_f64_e32 v[128:129], v[147:148], v[128:129]
	v_fma_f64 v[147:148], v[209:210], s[10:11], -v[149:150]
	v_add_f64_e32 v[130:131], v[147:148], v[130:131]
	v_mul_f64_e32 v[147:148], s[12:13], v[241:242]
	s_delay_alu instid0(VALU_DEP_1) | instskip(NEXT) | instid1(VALU_DEP_1)
	v_fma_f64 v[151:152], v[213:214], s[0:1], v[147:148]
	v_add_f64_e32 v[128:129], v[151:152], v[128:129]
	v_mul_f64_e32 v[151:152], s[12:13], v[237:238]
	s_delay_alu instid0(VALU_DEP_1) | instskip(NEXT) | instid1(VALU_DEP_1)
	v_fma_f64 v[211:212], v[223:224], s[0:1], -v[151:152]
	v_add_f64_e32 v[130:131], v[211:212], v[130:131]
	v_mul_f64_e32 v[211:212], s[28:29], v[245:246]
	s_delay_alu instid0(VALU_DEP_2) | instskip(NEXT) | instid1(VALU_DEP_2)
	v_add_f64_e32 v[130:131], v[8:9], v[130:131]
	v_fma_f64 v[221:222], v[219:220], s[22:23], v[211:212]
	s_delay_alu instid0(VALU_DEP_1)
	v_add_f64_e32 v[128:129], v[221:222], v[128:129]
	s_and_saveexec_b32 s33, vcc_lo
	s_cbranch_execz .LBB0_5
; %bb.4:
	v_mul_f64_e32 v[8:9], s[26:27], v[157:158]
	s_clause 0x3
	scratch_store_b64 off, v[10:11], off offset:248
	scratch_store_b64 off, v[12:13], off offset:256
	;; [unrolled: 1-line block ×4, first 2 shown]
	v_mul_f64_e32 v[12:13], s[22:23], v[157:158]
	v_mul_f64_e32 v[16:17], s[18:19], v[157:158]
	s_mov_b32 s43, 0x3fcea1e5
	s_mov_b32 s42, s30
	s_clause 0x3
	scratch_store_b64 off, v[18:19], off offset:280
	scratch_store_b64 off, v[26:27], off offset:288
	;; [unrolled: 1-line block ×4, first 2 shown]
	s_mov_b32 s45, 0x3fea55e2
	s_mov_b32 s44, s12
	v_dual_mov_b32 v222, v31 :: v_dual_mov_b32 v221, v30
	v_mul_f64_e32 v[30:31], s[36:37], v[245:246]
	v_fma_f64 v[10:11], v[161:162], s[42:43], v[8:9]
	v_fma_f64 v[8:9], v[161:162], s[30:31], v[8:9]
	;; [unrolled: 1-line block ×6, first 2 shown]
	v_mul_f64_e32 v[161:162], s[16:17], v[157:158]
	v_add_f64_e32 v[10:11], v[134:135], v[10:11]
	v_add_f64_e32 v[8:9], v[134:135], v[8:9]
	v_add_f64_e32 v[14:15], v[134:135], v[14:15]
	v_add_f64_e32 v[12:13], v[134:135], v[12:13]
	v_add_f64_e32 v[2:3], v[2:3], v[161:162]
	v_mul_f64_e32 v[161:162], s[16:17], v[153:154]
	scratch_store_b64 off, v[12:13], off offset:376 ; 8-byte Folded Spill
	v_add_f64_e64 v[0:1], v[161:162], -v[0:1]
	v_mul_f64_e32 v[161:162], s[0:1], v[157:158]
	v_mul_f64_e32 v[157:158], s[10:11], v[157:158]
	s_delay_alu instid0(VALU_DEP_2) | instskip(SKIP_1) | instid1(VALU_DEP_3)
	v_add_f64_e32 v[161:162], v[165:166], v[161:162]
	v_mul_f64_e32 v[165:166], s[0:1], v[153:154]
	v_add_f64_e32 v[157:158], v[159:160], v[157:158]
	v_mul_f64_e32 v[159:160], s[30:31], v[155:156]
	s_delay_alu instid0(VALU_DEP_3) | instskip(SKIP_1) | instid1(VALU_DEP_3)
	v_add_f64_e64 v[163:164], v[165:166], -v[163:164]
	v_mul_f64_e32 v[165:166], s[28:29], v[155:156]
	v_fma_f64 v[20:21], v[153:154], s[26:27], v[159:160]
	v_fma_f64 v[22:23], v[153:154], s[26:27], -v[159:160]
	v_mul_f64_e32 v[155:156], s[24:25], v[155:156]
	s_delay_alu instid0(VALU_DEP_4) | instskip(SKIP_2) | instid1(VALU_DEP_4)
	v_fma_f64 v[159:160], v[153:154], s[22:23], v[165:166]
	v_fma_f64 v[165:166], v[153:154], s[22:23], -v[165:166]
	v_add_f64_e32 v[20:21], v[132:133], v[20:21]
	v_fma_f64 v[26:27], v[153:154], s[18:19], -v[155:156]
	v_add_f64_e32 v[22:23], v[132:133], v[22:23]
	s_delay_alu instid0(VALU_DEP_4) | instskip(SKIP_1) | instid1(VALU_DEP_4)
	v_add_f64_e32 v[12:13], v[132:133], v[165:166]
	v_dual_mov_b32 v166, v29 :: v_dual_mov_b32 v165, v28
	v_add_f64_e32 v[26:27], v[132:133], v[26:27]
	v_mul_f64_e32 v[28:29], s[16:17], v[229:230]
	scratch_store_b64 off, v[12:13], off offset:368 ; 8-byte Folded Spill
	v_add_f64_e32 v[12:13], v[134:135], v[18:19]
	scratch_store_b64 off, v[24:25], off offset:312 ; 8-byte Folded Spill
	v_fma_f64 v[24:25], v[153:154], s[18:19], v[155:156]
	v_mul_f64_e32 v[153:154], s[10:11], v[153:154]
	v_add_f64_e32 v[155:156], v[132:133], v[159:160]
	v_add_f64_e32 v[159:160], v[134:135], v[161:162]
	v_add_f64_e32 v[161:162], v[132:133], v[163:164]
	v_add_f64_e32 v[18:19], v[134:135], v[16:17]
	v_add_f64_e32 v[16:17], v[134:135], v[2:3]
	scratch_store_b64 off, v[12:13], off offset:360 ; 8-byte Folded Spill
	v_add_f64_e32 v[12:13], v[132:133], v[24:25]
	v_add_f64_e64 v[153:154], v[153:154], -v[136:137]
	v_add_f64_e32 v[136:137], v[134:135], v[231:232]
	v_dual_mov_b32 v232, v170 :: v_dual_mov_b32 v231, v169
	v_dual_mov_b32 v170, v35 :: v_dual_mov_b32 v169, v34
	scratch_store_b64 off, v[12:13], off offset:352 ; 8-byte Folded Spill
	v_add_f64_e32 v[12:13], v[132:133], v[0:1]
	v_add_f64_e32 v[0:1], v[134:135], v[157:158]
	scratch_store_b64 off, v[136:137], off offset:320 ; 8-byte Folded Spill
	v_add_f64_e32 v[136:137], v[132:133], v[235:236]
	scratch_store_b64 off, v[0:1], off offset:336 ; 8-byte Folded Spill
	v_add_f64_e32 v[0:1], v[132:133], v[153:154]
	v_mul_f64_e32 v[132:133], s[10:11], v[187:188]
	scratch_store_b64 off, v[136:137], off offset:328 ; 8-byte Folded Spill
	v_dual_mov_b32 v137, v33 :: v_dual_mov_b32 v136, v32
	v_mul_f64_e32 v[32:33], s[18:19], v[229:230]
	scratch_store_b64 off, v[0:1], off offset:344 ; 8-byte Folded Spill
	v_fma_f64 v[0:1], v[197:198], s[14:15], v[132:133]
	v_fma_f64 v[34:35], v[243:244], s[40:41], v[32:33]
	s_delay_alu instid0(VALU_DEP_2) | instskip(SKIP_1) | instid1(VALU_DEP_1)
	v_add_f64_e32 v[0:1], v[0:1], v[10:11]
	v_mul_f64_e32 v[10:11], s[38:39], v[195:196]
	v_fma_f64 v[2:3], v[183:184], s[10:11], v[10:11]
	v_fma_f64 v[10:11], v[183:184], s[10:11], -v[10:11]
	s_delay_alu instid0(VALU_DEP_2) | instskip(SKIP_1) | instid1(VALU_DEP_3)
	v_add_f64_e32 v[2:3], v[2:3], v[20:21]
	v_mul_f64_e32 v[20:21], s[22:23], v[203:204]
	v_add_f64_e32 v[10:11], v[10:11], v[22:23]
	v_fma_f64 v[22:23], v[219:220], s[16:17], -v[30:31]
	s_delay_alu instid0(VALU_DEP_3) | instskip(SKIP_1) | instid1(VALU_DEP_2)
	v_fma_f64 v[134:135], v[217:218], s[34:35], v[20:21]
	v_fma_f64 v[20:21], v[217:218], s[28:29], v[20:21]
	v_add_f64_e32 v[0:1], v[134:135], v[0:1]
	v_mul_f64_e32 v[134:135], s[28:29], v[207:208]
	s_delay_alu instid0(VALU_DEP_1) | instskip(NEXT) | instid1(VALU_DEP_1)
	v_fma_f64 v[153:154], v[191:192], s[22:23], v[134:135]
	v_add_f64_e32 v[2:3], v[153:154], v[2:3]
	v_mul_f64_e32 v[153:154], s[0:1], v[209:210]
	s_delay_alu instid0(VALU_DEP_1) | instskip(NEXT) | instid1(VALU_DEP_1)
	;; [unrolled: 4-line block ×5, first 2 shown]
	v_fma_f64 v[24:25], v[213:214], s[18:19], v[235:236]
	v_add_f64_e32 v[24:25], v[24:25], v[2:3]
	v_fma_f64 v[2:3], v[243:244], s[20:21], v[28:29]
	s_delay_alu instid0(VALU_DEP_1) | instskip(SKIP_1) | instid1(VALU_DEP_1)
	v_add_f64_e32 v[2:3], v[2:3], v[0:1]
	v_fma_f64 v[0:1], v[219:220], s[16:17], v[30:31]
	v_add_f64_e32 v[0:1], v[0:1], v[24:25]
	v_fma_f64 v[24:25], v[197:198], s[38:39], v[132:133]
	s_delay_alu instid0(VALU_DEP_1) | instskip(NEXT) | instid1(VALU_DEP_1)
	v_add_f64_e32 v[8:9], v[24:25], v[8:9]
	v_add_f64_e32 v[8:9], v[20:21], v[8:9]
	v_fma_f64 v[20:21], v[191:192], s[22:23], -v[134:135]
	s_delay_alu instid0(VALU_DEP_1) | instskip(SKIP_1) | instid1(VALU_DEP_1)
	v_add_f64_e32 v[10:11], v[20:21], v[10:11]
	v_fma_f64 v[20:21], v[227:228], s[44:45], v[153:154]
	v_add_f64_e32 v[8:9], v[20:21], v[8:9]
	v_fma_f64 v[20:21], v[199:200], s[0:1], -v[157:158]
	scratch_load_b64 v[157:158], off, off offset:208 th:TH_LOAD_LU ; 8-byte Folded Reload
	v_add_f64_e32 v[10:11], v[20:21], v[10:11]
	v_fma_f64 v[20:21], v[237:238], s[24:25], v[163:164]
	v_mul_f64_e32 v[163:164], s[10:11], v[223:224]
	s_delay_alu instid0(VALU_DEP_2) | instskip(SKIP_2) | instid1(VALU_DEP_2)
	v_add_f64_e32 v[8:9], v[20:21], v[8:9]
	v_fma_f64 v[20:21], v[213:214], s[18:19], -v[235:236]
	v_mul_f64_e32 v[235:236], s[38:39], v[241:242]
	v_add_f64_e32 v[10:11], v[20:21], v[10:11]
	v_fma_f64 v[20:21], v[243:244], s[36:37], v[28:29]
	s_delay_alu instid0(VALU_DEP_2) | instskip(NEXT) | instid1(VALU_DEP_2)
	v_add_f64_e32 v[132:133], v[22:23], v[10:11]
	v_add_f64_e32 v[134:135], v[20:21], v[8:9]
	v_mul_f64_e32 v[8:9], s[16:17], v[187:188]
	v_mul_f64_e32 v[22:23], s[0:1], v[203:204]
	s_delay_alu instid0(VALU_DEP_2) | instskip(NEXT) | instid1(VALU_DEP_2)
	v_fma_f64 v[10:11], v[197:198], s[20:21], v[8:9]
	v_fma_f64 v[24:25], v[217:218], s[44:45], v[22:23]
	;; [unrolled: 1-line block ×3, first 2 shown]
	s_delay_alu instid0(VALU_DEP_3) | instskip(SKIP_1) | instid1(VALU_DEP_2)
	v_add_f64_e32 v[10:11], v[10:11], v[14:15]
	v_mul_f64_e32 v[14:15], s[36:37], v[195:196]
	v_add_f64_e32 v[10:11], v[24:25], v[10:11]
	s_delay_alu instid0(VALU_DEP_2) | instskip(SKIP_2) | instid1(VALU_DEP_3)
	v_fma_f64 v[20:21], v[183:184], s[16:17], v[14:15]
	v_mul_f64_e32 v[24:25], s[12:13], v[207:208]
	v_fma_f64 v[14:15], v[183:184], s[16:17], -v[14:15]
	v_add_f64_e32 v[20:21], v[20:21], v[155:156]
	s_delay_alu instid0(VALU_DEP_3) | instskip(NEXT) | instid1(VALU_DEP_1)
	v_fma_f64 v[28:29], v[191:192], s[0:1], v[24:25]
	v_add_f64_e32 v[20:21], v[28:29], v[20:21]
	v_mul_f64_e32 v[28:29], s[26:27], v[209:210]
	s_delay_alu instid0(VALU_DEP_1) | instskip(NEXT) | instid1(VALU_DEP_1)
	v_fma_f64 v[30:31], v[227:228], s[30:31], v[28:29]
	v_add_f64_e32 v[10:11], v[30:31], v[10:11]
	v_mul_f64_e32 v[30:31], s[42:43], v[233:234]
	s_delay_alu instid0(VALU_DEP_1) | instskip(NEXT) | instid1(VALU_DEP_1)
	v_fma_f64 v[153:154], v[199:200], s[26:27], v[30:31]
	v_add_f64_e32 v[20:21], v[153:154], v[20:21]
	v_fma_f64 v[153:154], v[237:238], s[14:15], v[163:164]
	s_delay_alu instid0(VALU_DEP_1) | instskip(SKIP_1) | instid1(VALU_DEP_2)
	v_add_f64_e32 v[10:11], v[153:154], v[10:11]
	v_fma_f64 v[153:154], v[213:214], s[10:11], v[235:236]
	v_add_f64_e32 v[155:156], v[34:35], v[10:11]
	v_mul_f64_e32 v[10:11], s[24:25], v[245:246]
	s_delay_alu instid0(VALU_DEP_3) | instskip(NEXT) | instid1(VALU_DEP_2)
	v_add_f64_e32 v[20:21], v[153:154], v[20:21]
	v_fma_f64 v[34:35], v[219:220], s[18:19], v[10:11]
	v_fma_f64 v[10:11], v[219:220], s[18:19], -v[10:11]
	s_delay_alu instid0(VALU_DEP_2) | instskip(SKIP_3) | instid1(VALU_DEP_2)
	v_add_f64_e32 v[153:154], v[34:35], v[20:21]
	v_mul_f64_e32 v[34:35], s[18:19], v[187:188]
	v_mul_f64_e32 v[20:21], s[26:27], v[203:204]
	s_wait_loadcnt 0x0
	v_add_f64_e32 v[34:35], v[157:158], v[34:35]
	v_mul_f64_e32 v[157:158], s[26:27], v[191:192]
	s_delay_alu instid0(VALU_DEP_3) | instskip(SKIP_1) | instid1(VALU_DEP_4)
	v_add_f64_e32 v[20:21], v[193:194], v[20:21]
	v_mul_f64_e32 v[193:194], s[18:19], v[183:184]
	v_add_f64_e32 v[34:35], v[34:35], v[159:160]
	s_delay_alu instid0(VALU_DEP_4)
	v_add_f64_e64 v[157:158], v[157:158], -v[247:248]
	scratch_load_b64 v[247:248], off, off offset:200 th:TH_LOAD_LU ; 8-byte Folded Reload
	v_add_f64_e32 v[20:21], v[20:21], v[34:35]
	s_wait_loadcnt 0x0
	v_add_f64_e64 v[193:194], v[193:194], -v[247:248]
	v_mul_f64_e32 v[247:248], s[22:23], v[209:210]
	s_delay_alu instid0(VALU_DEP_2) | instskip(NEXT) | instid1(VALU_DEP_2)
	v_add_f64_e32 v[159:160], v[193:194], v[161:162]
	v_add_f64_e32 v[201:202], v[201:202], v[247:248]
	v_mul_f64_e32 v[247:248], s[22:23], v[199:200]
	scratch_load_b64 v[193:194], off, off offset:224 th:TH_LOAD_LU ; 8-byte Folded Reload
	v_mul_f64_e32 v[161:162], s[16:17], v[213:214]
	v_add_f64_e32 v[34:35], v[157:158], v[159:160]
	v_mul_f64_e32 v[157:158], s[10:11], v[229:230]
	v_add_f64_e64 v[247:248], v[247:248], -v[249:250]
	v_mul_f64_e32 v[249:250], s[16:17], v[223:224]
	v_add_f64_e32 v[20:21], v[201:202], v[20:21]
	v_mul_f64_e32 v[159:160], s[10:11], v[219:220]
	v_mul_f64_e32 v[201:202], s[0:1], v[229:230]
	v_add_f64_e32 v[157:158], v[189:190], v[157:158]
	scratch_load_b64 v[189:190], off, off offset:232 th:TH_LOAD_LU ; 8-byte Folded Reload
	v_add_f64_e32 v[138:139], v[138:139], v[249:250]
	v_add_f64_e32 v[34:35], v[247:248], v[34:35]
	s_delay_alu instid0(VALU_DEP_2) | instskip(SKIP_4) | instid1(VALU_DEP_2)
	v_add_f64_e32 v[20:21], v[138:139], v[20:21]
	scratch_load_b64 v[138:139], off, off offset:240 th:TH_LOAD_LU ; 8-byte Folded Reload
	s_wait_loadcnt 0x2
	v_add_f64_e64 v[161:162], v[161:162], -v[193:194]
	v_mul_f64_e32 v[193:194], s[42:43], v[241:242]
	v_add_f64_e32 v[34:35], v[161:162], v[34:35]
	v_mul_f64_e32 v[161:162], s[16:17], v[209:210]
	s_wait_loadcnt 0x1
	v_add_f64_e64 v[189:190], v[159:160], -v[189:190]
	v_add_f64_e32 v[159:160], v[157:158], v[20:21]
	v_mul_f64_e32 v[20:21], s[18:19], v[203:204]
	s_delay_alu instid0(VALU_DEP_3) | instskip(SKIP_1) | instid1(VALU_DEP_3)
	v_add_f64_e32 v[157:158], v[189:190], v[34:35]
	v_mul_f64_e32 v[34:35], s[26:27], v[187:188]
	v_add_f64_e32 v[20:21], v[141:142], v[20:21]
	v_mul_f64_e32 v[141:142], s[26:27], v[183:184]
	v_mul_f64_e32 v[189:190], s[26:27], v[223:224]
	s_wait_loadcnt 0x0
	s_delay_alu instid0(VALU_DEP_4) | instskip(SKIP_1) | instid1(VALU_DEP_2)
	v_add_f64_e32 v[34:35], v[138:139], v[34:35]
	v_mul_f64_e32 v[138:139], s[18:19], v[191:192]
	v_add_f64_e32 v[34:35], v[34:35], v[16:17]
	s_delay_alu instid0(VALU_DEP_2) | instskip(SKIP_3) | instid1(VALU_DEP_1)
	v_add_f64_e64 v[138:139], v[138:139], -v[143:144]
	scratch_load_b64 v[143:144], off, off offset:216 th:TH_LOAD_LU ; 8-byte Folded Reload
	v_add_f64_e32 v[20:21], v[20:21], v[34:35]
	v_mul_f64_e32 v[34:35], s[22:23], v[229:230]
	v_add_f64_e32 v[34:35], v[185:186], v[34:35]
	v_mul_f64_e32 v[185:186], s[20:21], v[233:234]
	s_wait_loadcnt 0x0
	v_add_f64_e64 v[141:142], v[141:142], -v[143:144]
	v_mul_f64_e32 v[143:144], s[10:11], v[209:210]
	s_delay_alu instid0(VALU_DEP_2) | instskip(NEXT) | instid1(VALU_DEP_2)
	v_add_f64_e32 v[12:13], v[141:142], v[12:13]
	v_add_f64_e32 v[143:144], v[149:150], v[143:144]
	v_mul_f64_e32 v[149:150], s[10:11], v[199:200]
	v_mul_f64_e32 v[141:142], s[0:1], v[213:214]
	s_delay_alu instid0(VALU_DEP_4) | instskip(SKIP_1) | instid1(VALU_DEP_4)
	v_add_f64_e32 v[12:13], v[138:139], v[12:13]
	v_mul_f64_e32 v[138:139], s[22:23], v[219:220]
	v_add_f64_e64 v[145:146], v[149:150], -v[145:146]
	v_mul_f64_e32 v[149:150], s[0:1], v[223:224]
	v_add_f64_e64 v[141:142], v[141:142], -v[147:148]
	v_add_f64_e32 v[20:21], v[143:144], v[20:21]
	v_add_f64_e64 v[138:139], v[138:139], -v[211:212]
	v_add_f64_e32 v[12:13], v[145:146], v[12:13]
	v_add_f64_e32 v[149:150], v[151:152], v[149:150]
	s_delay_alu instid0(VALU_DEP_2) | instskip(NEXT) | instid1(VALU_DEP_2)
	v_add_f64_e32 v[12:13], v[141:142], v[12:13]
	v_add_f64_e32 v[20:21], v[149:150], v[20:21]
	s_delay_alu instid0(VALU_DEP_2) | instskip(SKIP_1) | instid1(VALU_DEP_3)
	v_add_f64_e32 v[141:142], v[138:139], v[12:13]
	v_mul_f64_e32 v[12:13], s[22:23], v[187:188]
	v_add_f64_e32 v[143:144], v[34:35], v[20:21]
	s_delay_alu instid0(VALU_DEP_2) | instskip(NEXT) | instid1(VALU_DEP_1)
	v_fma_f64 v[20:21], v[197:198], s[34:35], v[12:13]
	v_add_f64_e32 v[16:17], v[20:21], v[18:19]
	v_mul_f64_e32 v[20:21], s[34:35], v[195:196]
	v_mul_f64_e32 v[195:196], s[44:45], v[245:246]
	scratch_load_b64 v[18:19], off, off offset:360 th:TH_LOAD_LU ; 8-byte Folded Reload
	v_fma_f64 v[34:35], v[183:184], s[22:23], -v[20:21]
	s_delay_alu instid0(VALU_DEP_1) | instskip(SKIP_1) | instid1(VALU_DEP_1)
	v_add_f64_e32 v[26:27], v[34:35], v[26:27]
	v_mul_f64_e32 v[34:35], s[10:11], v[203:204]
	v_fma_f64 v[138:139], v[217:218], s[38:39], v[34:35]
	s_delay_alu instid0(VALU_DEP_1) | instskip(SKIP_1) | instid1(VALU_DEP_1)
	v_add_f64_e32 v[16:17], v[138:139], v[16:17]
	v_mul_f64_e32 v[138:139], s[38:39], v[207:208]
	v_fma_f64 v[145:146], v[191:192], s[10:11], -v[138:139]
	s_delay_alu instid0(VALU_DEP_1) | instskip(SKIP_1) | instid1(VALU_DEP_1)
	v_add_f64_e32 v[26:27], v[145:146], v[26:27]
	v_fma_f64 v[145:146], v[227:228], s[20:21], v[161:162]
	v_add_f64_e32 v[16:17], v[145:146], v[16:17]
	v_fma_f64 v[145:146], v[199:200], s[16:17], -v[185:186]
	s_delay_alu instid0(VALU_DEP_1) | instskip(SKIP_1) | instid1(VALU_DEP_1)
	v_add_f64_e32 v[26:27], v[145:146], v[26:27]
	v_fma_f64 v[145:146], v[237:238], s[42:43], v[189:190]
	v_add_f64_e32 v[16:17], v[145:146], v[16:17]
	;; [unrolled: 5-line block ×3, first 2 shown]
	v_fma_f64 v[16:17], v[219:220], s[0:1], -v[195:196]
	s_delay_alu instid0(VALU_DEP_1)
	v_add_f64_e32 v[145:146], v[16:17], v[26:27]
	scratch_load_b64 v[16:17], off, off offset:376 th:TH_LOAD_LU ; 8-byte Folded Reload
	s_wait_loadcnt 0x0
	v_add_f64_e32 v[8:9], v[8:9], v[16:17]
	scratch_load_b64 v[16:17], off, off offset:368 th:TH_LOAD_LU ; 8-byte Folded Reload
	s_wait_loadcnt 0x0
	v_add_f64_e32 v[14:15], v[14:15], v[16:17]
	v_fma_f64 v[16:17], v[217:218], s[12:13], v[22:23]
	s_delay_alu instid0(VALU_DEP_1) | instskip(SKIP_1) | instid1(VALU_DEP_1)
	v_add_f64_e32 v[8:9], v[16:17], v[8:9]
	v_fma_f64 v[16:17], v[191:192], s[0:1], -v[24:25]
	v_add_f64_e32 v[14:15], v[16:17], v[14:15]
	v_fma_f64 v[16:17], v[227:228], s[42:43], v[28:29]
	s_delay_alu instid0(VALU_DEP_1) | instskip(SKIP_1) | instid1(VALU_DEP_1)
	v_add_f64_e32 v[8:9], v[16:17], v[8:9]
	v_fma_f64 v[16:17], v[199:200], s[26:27], -v[30:31]
	;; [unrolled: 5-line block ×3, first 2 shown]
	v_add_f64_e32 v[14:15], v[16:17], v[14:15]
	v_fma_f64 v[16:17], v[243:244], s[24:25], v[32:33]
	s_delay_alu instid0(VALU_DEP_2) | instskip(NEXT) | instid1(VALU_DEP_2)
	v_add_f64_e32 v[149:150], v[10:11], v[14:15]
	v_add_f64_e32 v[151:152], v[16:17], v[8:9]
	v_fma_f64 v[8:9], v[197:198], s[28:29], v[12:13]
	v_fma_f64 v[10:11], v[217:218], s[14:15], v[34:35]
	;; [unrolled: 1-line block ×5, first 2 shown]
	v_add_f64_e32 v[8:9], v[8:9], v[18:19]
	v_fma_f64 v[18:19], v[183:184], s[22:23], v[20:21]
	scratch_load_b64 v[20:21], off, off offset:352 th:TH_LOAD_LU ; 8-byte Folded Reload
	v_add_f64_e32 v[8:9], v[10:11], v[8:9]
	v_fma_f64 v[10:11], v[191:192], s[10:11], v[138:139]
	s_delay_alu instid0(VALU_DEP_2) | instskip(SKIP_1) | instid1(VALU_DEP_2)
	v_add_f64_e32 v[8:9], v[12:13], v[8:9]
	v_fma_f64 v[12:13], v[199:200], s[16:17], v[185:186]
	v_add_f64_e32 v[8:9], v[14:15], v[8:9]
	v_mul_f64_e32 v[14:15], s[16:17], v[191:192]
	s_delay_alu instid0(VALU_DEP_2) | instskip(SKIP_3) | instid1(VALU_DEP_2)
	v_add_f64_e32 v[163:164], v[16:17], v[8:9]
	scratch_load_b64 v[16:17], off, off offset:336 th:TH_LOAD_LU ; 8-byte Folded Reload
	v_mul_f64_e32 v[8:9], s[0:1], v[187:188]
	v_add_f64_e64 v[14:15], v[14:15], -v[251:252]
	v_add_f64_e32 v[8:9], v[205:206], v[8:9]
	s_wait_loadcnt 0x1
	v_add_f64_e32 v[18:19], v[18:19], v[20:21]
	scratch_load_b64 v[20:21], off, off offset:168 th:TH_LOAD_LU ; 8-byte Folded Reload
	v_add_f64_e32 v[10:11], v[10:11], v[18:19]
	v_mul_f64_e32 v[18:19], s[18:19], v[199:200]
	s_delay_alu instid0(VALU_DEP_2) | instskip(SKIP_1) | instid1(VALU_DEP_3)
	v_add_f64_e32 v[10:11], v[12:13], v[10:11]
	v_fma_f64 v[12:13], v[213:214], s[26:27], v[193:194]
	v_add_f64_e64 v[18:19], v[18:19], -v[215:216]
	s_delay_alu instid0(VALU_DEP_2)
	v_add_f64_e32 v[10:11], v[12:13], v[10:11]
	v_fma_f64 v[12:13], v[219:220], s[0:1], v[195:196]
	s_wait_loadcnt 0x1
	v_add_f64_e32 v[8:9], v[8:9], v[16:17]
	scratch_load_b64 v[16:17], off, off offset:344 th:TH_LOAD_LU ; 8-byte Folded Reload
	v_add_f64_e32 v[161:162], v[12:13], v[10:11]
	v_mul_f64_e32 v[10:11], s[0:1], v[183:184]
	v_mul_f64_e32 v[12:13], s[16:17], v[203:204]
	s_delay_alu instid0(VALU_DEP_2) | instskip(NEXT) | instid1(VALU_DEP_2)
	v_add_f64_e64 v[10:11], v[10:11], -v[181:182]
	v_add_f64_e32 v[12:13], v[253:254], v[12:13]
	s_delay_alu instid0(VALU_DEP_1) | instskip(SKIP_2) | instid1(VALU_DEP_4)
	v_add_f64_e32 v[8:9], v[12:13], v[8:9]
	v_mul_f64_e32 v[12:13], s[22:23], v[223:224]
	s_wait_loadcnt 0x0
	v_add_f64_e32 v[10:11], v[10:11], v[16:17]
	v_mul_f64_e32 v[16:17], s[18:19], v[209:210]
	s_delay_alu instid0(VALU_DEP_2)
	v_add_f64_e32 v[10:11], v[14:15], v[10:11]
	scratch_load_b64 v[14:15], off, off offset:184 th:TH_LOAD_LU ; 8-byte Folded Reload
	v_add_f64_e32 v[16:17], v[225:226], v[16:17]
	v_add_f64_e32 v[10:11], v[18:19], v[10:11]
	scratch_load_b64 v[18:19], off, off offset:192 th:TH_LOAD_LU ; 8-byte Folded Reload
	v_add_f64_e32 v[8:9], v[16:17], v[8:9]
	v_mul_f64_e32 v[16:17], s[26:27], v[229:230]
	s_wait_loadcnt 0x1
	v_add_f64_e32 v[12:13], v[14:15], v[12:13]
	v_mul_f64_e32 v[14:15], s[22:23], v[213:214]
	s_delay_alu instid0(VALU_DEP_2) | instskip(NEXT) | instid1(VALU_DEP_2)
	v_add_f64_e32 v[8:9], v[12:13], v[8:9]
	v_add_f64_e64 v[14:15], v[14:15], -v[20:21]
	scratch_load_b64 v[20:21], off, off offset:176 th:TH_LOAD_LU ; 8-byte Folded Reload
	s_wait_loadcnt 0x1
	v_add_f64_e32 v[16:17], v[18:19], v[16:17]
	v_mul_f64_e32 v[18:19], s[26:27], v[219:220]
	v_add_f64_e32 v[10:11], v[14:15], v[10:11]
	s_delay_alu instid0(VALU_DEP_3) | instskip(SKIP_1) | instid1(VALU_DEP_3)
	v_add_f64_e32 v[185:186], v[16:17], v[8:9]
	s_wait_loadcnt 0x0
	v_add_f64_e64 v[18:19], v[18:19], -v[20:21]
	s_delay_alu instid0(VALU_DEP_1)
	v_add_f64_e32 v[183:184], v[18:19], v[10:11]
	s_clause 0x1
	scratch_load_b64 v[8:9], off, off offset:304 th:TH_LOAD_LU
	scratch_load_b64 v[10:11], off, off offset:320 th:TH_LOAD_LU
	s_wait_loadcnt 0x0
	v_add_f64_e32 v[8:9], v[10:11], v[8:9]
	s_clause 0x1
	scratch_load_b64 v[10:11], off, off offset:280 th:TH_LOAD_LU
	scratch_load_b64 v[12:13], off, off offset:328 th:TH_LOAD_LU
	s_wait_loadcnt 0x0
	v_add_f64_e32 v[10:11], v[12:13], v[10:11]
	scratch_load_b64 v[12:13], off, off offset:312 th:TH_LOAD_LU ; 8-byte Folded Reload
	s_wait_loadcnt 0x0
	v_add_f64_e32 v[8:9], v[8:9], v[12:13]
	scratch_load_b64 v[12:13], off, off offset:296 th:TH_LOAD_LU ; 8-byte Folded Reload
	v_add_f64_e32 v[8:9], v[8:9], v[36:37]
	s_delay_alu instid0(VALU_DEP_1) | instskip(NEXT) | instid1(VALU_DEP_1)
	v_add_f64_e32 v[8:9], v[8:9], v[167:168]
	v_add_f64_e32 v[8:9], v[8:9], v[177:178]
	s_delay_alu instid0(VALU_DEP_1) | instskip(NEXT) | instid1(VALU_DEP_1)
	v_add_f64_e32 v[8:9], v[8:9], v[179:180]
	;; [unrolled: 3-line block ×3, first 2 shown]
	v_add_f64_e32 v[8:9], v[8:9], v[165:166]
	s_wait_loadcnt 0x0
	v_add_f64_e32 v[10:11], v[10:11], v[12:13]
	scratch_load_b64 v[12:13], off, off offset:288 th:TH_LOAD_LU ; 8-byte Folded Reload
	v_add_f64_e32 v[10:11], v[10:11], v[169:170]
	s_delay_alu instid0(VALU_DEP_1) | instskip(NEXT) | instid1(VALU_DEP_1)
	v_add_f64_e32 v[10:11], v[10:11], v[38:39]
	v_add_f64_e32 v[10:11], v[10:11], v[173:174]
	s_delay_alu instid0(VALU_DEP_1) | instskip(NEXT) | instid1(VALU_DEP_1)
	v_add_f64_e32 v[10:11], v[10:11], v[175:176]
	v_add_f64_e32 v[10:11], v[10:11], v[231:232]
	s_delay_alu instid0(VALU_DEP_1) | instskip(SKIP_1) | instid1(VALU_DEP_1)
	v_add_f64_e32 v[10:11], v[10:11], v[136:137]
	s_wait_loadcnt 0x0
	v_add_f64_e32 v[10:11], v[10:11], v[12:13]
	scratch_load_b64 v[12:13], off, off offset:264 th:TH_LOAD_LU ; 8-byte Folded Reload
	s_wait_loadcnt 0x0
	v_add_f64_e32 v[8:9], v[8:9], v[12:13]
	scratch_load_b64 v[12:13], off, off offset:272 th:TH_LOAD_LU ; 8-byte Folded Reload
	;; [unrolled: 3-line block ×4, first 2 shown]
	s_wait_loadcnt 0x0
	v_add_f64_e32 v[165:166], v[10:11], v[8:9]
	s_clause 0x1
	scratch_load_b32 v8, off, off
	scratch_load_b32 v9, off, off offset:148
	s_wait_loadcnt 0x0
	v_lshl_add_u32 v8, v8, 4, v9
	ds_store_b128 v8, v[157:160] offset:1600
	ds_store_b128 v8, v[141:144] offset:2400
	;; [unrolled: 1-line block ×11, first 2 shown]
	ds_store_b128 v255, v[165:168]
	ds_store_b128 v8, v[104:107] offset:9600
.LBB0_5:
	s_or_b32 exec_lo, exec_lo, s33
	s_add_nc_u64 s[0:1], s[8:9], 0x28a0
	global_wb scope:SCOPE_SE
	s_wait_storecnt_dscnt 0x0
	s_barrier_signal -1
	s_barrier_wait -1
	global_inv scope:SCOPE_SE
	s_clause 0x9
	global_load_b128 v[0:3], v[239:240], off offset:10400
	global_load_b128 v[132:135], v4, s[0:1] offset:1040
	global_load_b128 v[136:139], v4, s[0:1] offset:2080
	;; [unrolled: 1-line block ×9, first 2 shown]
	ds_load_b128 v[169:172], v255
	ds_load_b128 v[173:176], v255 offset:1040
	ds_load_b128 v[177:180], v255 offset:2080
	;; [unrolled: 1-line block ×9, first 2 shown]
	s_mov_b32 s10, 0x134454ff
	s_mov_b32 s11, 0xbfee6f0e
	;; [unrolled: 1-line block ×3, first 2 shown]
	s_wait_alu 0xfffe
	s_mov_b32 s12, s10
	s_mov_b32 s0, 0x4755a5e
	;; [unrolled: 1-line block ×4, first 2 shown]
	s_wait_alu 0xfffe
	s_mov_b32 s8, s0
	s_mov_b32 s14, 0x372fe950
	;; [unrolled: 1-line block ×5, first 2 shown]
	s_wait_alu 0xfffe
	s_mov_b32 s18, s14
	s_mov_b32 s17, 0x3fe9e377
	s_mov_b32 s21, 0xbfe9e377
	s_mov_b32 s20, s16
	s_wait_loadcnt_dscnt 0x909
	v_mul_f64_e32 v[8:9], v[171:172], v[2:3]
	v_mul_f64_e32 v[2:3], v[169:170], v[2:3]
	s_wait_loadcnt_dscnt 0x808
	v_mul_f64_e32 v[10:11], v[175:176], v[134:135]
	v_mul_f64_e32 v[12:13], v[173:174], v[134:135]
	;; [unrolled: 3-line block ×10, first 2 shown]
	v_fma_f64 v[167:168], v[169:170], v[0:1], -v[8:9]
	v_fma_f64 v[169:170], v[171:172], v[0:1], v[2:3]
	v_fma_f64 v[0:1], v[173:174], v[132:133], -v[10:11]
	v_fma_f64 v[2:3], v[175:176], v[132:133], v[12:13]
	;; [unrolled: 2-line block ×10, first 2 shown]
	ds_store_b128 v255, v[167:170]
	ds_store_b128 v255, v[0:3] offset:1040
	ds_store_b128 v255, v[132:135] offset:2080
	;; [unrolled: 1-line block ×9, first 2 shown]
	global_wb scope:SCOPE_SE
	s_wait_dscnt 0x0
	s_barrier_signal -1
	s_barrier_wait -1
	global_inv scope:SCOPE_SE
	ds_load_b128 v[0:3], v255 offset:3120
	ds_load_b128 v[132:135], v255 offset:5200
	;; [unrolled: 1-line block ×9, first 2 shown]
	ds_load_b128 v[165:168], v255
	global_wb scope:SCOPE_SE
	s_wait_dscnt 0x0
	s_barrier_signal -1
	s_barrier_wait -1
	global_inv scope:SCOPE_SE
	v_add_f64_e64 v[30:31], v[0:1], -v[132:133]
	v_add_f64_e32 v[8:9], v[134:135], v[138:139]
	v_add_f64_e32 v[10:11], v[2:3], v[143:144]
	;; [unrolled: 1-line block ×4, first 2 shown]
	v_add_f64_e64 v[16:17], v[0:1], -v[141:142]
	v_add_f64_e64 v[18:19], v[132:133], -v[136:137]
	v_add_f64_e64 v[20:21], v[2:3], -v[143:144]
	v_add_f64_e32 v[22:23], v[153:154], v[157:158]
	v_add_f64_e32 v[24:25], v[149:150], v[161:162]
	;; [unrolled: 1-line block ×4, first 2 shown]
	v_add_f64_e64 v[32:33], v[141:142], -v[136:137]
	v_add_f64_e64 v[34:35], v[2:3], -v[134:135]
	;; [unrolled: 1-line block ×6, first 2 shown]
	v_add_f64_e32 v[183:184], v[165:166], v[149:150]
	v_add_f64_e32 v[189:190], v[167:168], v[151:152]
	;; [unrolled: 1-line block ×3, first 2 shown]
	v_add_f64_e64 v[185:186], v[151:152], -v[163:164]
	v_add_f64_e64 v[187:188], v[155:156], -v[159:160]
	;; [unrolled: 1-line block ×4, first 2 shown]
	v_fma_f64 v[8:9], v[8:9], -0.5, v[147:148]
	v_fma_f64 v[10:11], v[10:11], -0.5, v[147:148]
	;; [unrolled: 1-line block ×4, first 2 shown]
	v_add_f64_e32 v[145:146], v[145:146], v[0:1]
	v_add_f64_e64 v[0:1], v[132:133], -v[0:1]
	v_add_f64_e64 v[147:148], v[153:154], -v[157:158]
	v_fma_f64 v[22:23], v[22:23], -0.5, v[165:166]
	v_fma_f64 v[24:25], v[24:25], -0.5, v[165:166]
	;; [unrolled: 1-line block ×4, first 2 shown]
	v_add_f64_e32 v[30:31], v[30:31], v[32:33]
	v_add_f64_e32 v[32:33], v[34:35], v[169:170]
	v_add_f64_e32 v[34:35], v[171:172], v[173:174]
	v_add_f64_e64 v[173:174], v[157:158], -v[161:162]
	v_add_f64_e64 v[171:172], v[161:162], -v[157:158]
	v_add_f64_e32 v[2:3], v[2:3], v[134:135]
	v_fma_f64 v[177:178], v[16:17], s[12:13], v[8:9]
	v_fma_f64 v[179:180], v[18:19], s[10:11], v[10:11]
	;; [unrolled: 1-line block ×8, first 2 shown]
	v_add_f64_e32 v[132:133], v[145:146], v[132:133]
	v_add_f64_e32 v[0:1], v[0:1], v[193:194]
	v_fma_f64 v[134:135], v[185:186], s[10:11], v[22:23]
	v_fma_f64 v[22:23], v[185:186], s[12:13], v[22:23]
	;; [unrolled: 1-line block ×4, first 2 shown]
	v_add_f64_e32 v[2:3], v[2:3], v[138:139]
	v_fma_f64 v[167:168], v[18:19], s[8:9], v[177:178]
	v_fma_f64 v[169:170], v[16:17], s[8:9], v[179:180]
	;; [unrolled: 1-line block ×5, first 2 shown]
	v_add_f64_e64 v[18:19], v[149:150], -v[153:154]
	v_add_f64_e64 v[149:150], v[153:154], -v[149:150]
	;; [unrolled: 1-line block ×5, first 2 shown]
	v_add_f64_e32 v[153:154], v[183:184], v[153:154]
	v_add_f64_e32 v[155:156], v[189:190], v[155:156]
	v_add_f64_e64 v[179:180], v[163:164], -v[159:160]
	v_fma_f64 v[183:184], v[191:192], s[12:13], v[26:27]
	v_fma_f64 v[12:13], v[175:176], s[8:9], v[12:13]
	v_fma_f64 v[165:166], v[20:21], s[0:1], v[165:166]
	v_fma_f64 v[14:15], v[20:21], s[8:9], v[14:15]
	v_fma_f64 v[26:27], v[191:192], s[10:11], v[26:27]
	v_fma_f64 v[189:190], v[147:148], s[10:11], v[28:29]
	v_fma_f64 v[28:29], v[147:148], s[12:13], v[28:29]
	v_add_f64_e32 v[132:133], v[132:133], v[136:137]
	v_fma_f64 v[134:135], v[187:188], s[0:1], v[134:135]
	v_fma_f64 v[22:23], v[187:188], s[8:9], v[22:23]
	;; [unrolled: 1-line block ×9, first 2 shown]
	v_add_f64_e32 v[18:19], v[18:19], v[171:172]
	v_add_f64_e32 v[32:33], v[149:150], v[173:174]
	;; [unrolled: 1-line block ×6, first 2 shown]
	v_fma_f64 v[138:139], v[147:148], s[8:9], v[183:184]
	v_fma_f64 v[12:13], v[30:31], s[14:15], v[12:13]
	;; [unrolled: 1-line block ×7, first 2 shown]
	v_add_f64_e32 v[132:133], v[132:133], v[141:142]
	v_add_f64_e32 v[141:142], v[2:3], v[143:144]
	v_mul_f64_e32 v[14:15], s[0:1], v[20:21]
	v_mul_f64_e32 v[147:148], s[10:11], v[167:168]
	;; [unrolled: 1-line block ×5, first 2 shown]
	s_wait_alu 0xfffe
	v_mul_f64_e32 v[10:11], s[18:19], v[10:11]
	v_mul_f64_e32 v[157:158], s[0:1], v[8:9]
	;; [unrolled: 1-line block ×3, first 2 shown]
	v_fma_f64 v[24:25], v[32:33], s[14:15], v[24:25]
	v_add_f64_e32 v[151:152], v[151:152], v[161:162]
	v_add_f64_e32 v[153:154], v[153:154], v[163:164]
	v_fma_f64 v[161:162], v[18:19], s[14:15], v[134:135]
	v_fma_f64 v[18:19], v[18:19], s[14:15], v[22:23]
	;; [unrolled: 1-line block ×15, first 2 shown]
	v_add_f64_e32 v[0:1], v[151:152], v[132:133]
	v_add_f64_e32 v[2:3], v[153:154], v[141:142]
	v_add_f64_e64 v[134:135], v[153:154], -v[141:142]
	v_add_f64_e64 v[132:133], v[151:152], -v[132:133]
	v_add_f64_e32 v[136:137], v[161:162], v[14:15]
	v_add_f64_e32 v[141:142], v[22:23], v[16:17]
	;; [unrolled: 1-line block ×8, first 2 shown]
	v_add_f64_e64 v[153:154], v[161:162], -v[14:15]
	v_add_f64_e64 v[161:162], v[24:25], -v[155:156]
	;; [unrolled: 1-line block ×8, first 2 shown]
	ds_store_b128 v6, v[0:3]
	ds_store_b128 v6, v[136:139] offset:16
	ds_store_b128 v6, v[141:144] offset:32
	;; [unrolled: 1-line block ×9, first 2 shown]
	global_wb scope:SCOPE_SE
	s_wait_dscnt 0x0
	s_barrier_signal -1
	s_barrier_wait -1
	global_inv scope:SCOPE_SE
	ds_load_b128 v[0:3], v255 offset:2080
	ds_load_b128 v[132:135], v255 offset:4160
	;; [unrolled: 1-line block ×8, first 2 shown]
	s_wait_dscnt 0x7
	v_mul_f64_e32 v[8:9], v[62:63], v[2:3]
	s_wait_dscnt 0x6
	v_mul_f64_e32 v[10:11], v[54:55], v[134:135]
	;; [unrolled: 2-line block ×3, first 2 shown]
	v_mul_f64_e32 v[14:15], v[62:63], v[0:1]
	s_wait_dscnt 0x4
	v_mul_f64_e32 v[16:17], v[58:59], v[143:144]
	v_mul_f64_e32 v[18:19], v[54:55], v[132:133]
	;; [unrolled: 1-line block ×4, first 2 shown]
	s_wait_dscnt 0x3
	v_mul_f64_e32 v[24:25], v[66:67], v[147:148]
	s_wait_dscnt 0x2
	v_mul_f64_e32 v[26:27], v[78:79], v[151:152]
	;; [unrolled: 2-line block ×3, first 2 shown]
	v_mul_f64_e32 v[30:31], v[78:79], v[149:150]
	s_wait_dscnt 0x0
	v_mul_f64_e32 v[32:33], v[70:71], v[159:160]
	v_mul_f64_e32 v[34:35], v[74:75], v[153:154]
	;; [unrolled: 1-line block ×4, first 2 shown]
	v_fma_f64 v[8:9], v[60:61], v[0:1], v[8:9]
	v_fma_f64 v[10:11], v[52:53], v[132:133], v[10:11]
	;; [unrolled: 1-line block ×3, first 2 shown]
	v_fma_f64 v[14:15], v[60:61], v[2:3], -v[14:15]
	v_fma_f64 v[16:17], v[56:57], v[141:142], v[16:17]
	v_fma_f64 v[18:19], v[52:53], v[134:135], -v[18:19]
	v_fma_f64 v[20:21], v[48:49], v[138:139], -v[20:21]
	;; [unrolled: 1-line block ×3, first 2 shown]
	v_fma_f64 v[24:25], v[64:65], v[145:146], v[24:25]
	v_fma_f64 v[26:27], v[76:77], v[149:150], v[26:27]
	;; [unrolled: 1-line block ×3, first 2 shown]
	v_fma_f64 v[30:31], v[76:77], v[151:152], -v[30:31]
	v_fma_f64 v[32:33], v[68:69], v[157:158], v[32:33]
	v_fma_f64 v[34:35], v[72:73], v[155:156], -v[34:35]
	v_fma_f64 v[52:53], v[64:65], v[147:148], -v[50:51]
	;; [unrolled: 1-line block ×3, first 2 shown]
	ds_load_b128 v[0:3], v255
	ds_load_b128 v[48:51], v255 offset:1040
	global_wb scope:SCOPE_SE
	s_wait_dscnt 0x0
	s_barrier_signal -1
	s_barrier_wait -1
	global_inv scope:SCOPE_SE
	v_add_f64_e32 v[72:73], v[0:1], v[8:9]
	v_add_f64_e32 v[56:57], v[10:11], v[12:13]
	;; [unrolled: 1-line block ×4, first 2 shown]
	v_add_f64_e64 v[136:137], v[8:9], -v[16:17]
	v_add_f64_e32 v[60:61], v[18:19], v[20:21]
	v_add_f64_e32 v[62:63], v[14:15], v[22:23]
	v_add_f64_e64 v[74:75], v[14:15], -v[22:23]
	v_add_f64_e64 v[76:77], v[18:19], -v[20:21]
	v_add_f64_e32 v[64:65], v[26:27], v[28:29]
	v_add_f64_e32 v[132:133], v[48:49], v[24:25]
	;; [unrolled: 1-line block ×6, first 2 shown]
	v_add_f64_e64 v[138:139], v[52:53], -v[54:55]
	v_add_f64_e64 v[141:142], v[24:25], -v[32:33]
	;; [unrolled: 1-line block ×16, first 2 shown]
	v_fma_f64 v[56:57], v[56:57], -0.5, v[0:1]
	v_add_f64_e32 v[18:19], v[78:79], v[18:19]
	v_fma_f64 v[0:1], v[58:59], -0.5, v[0:1]
	v_add_f64_e64 v[58:59], v[10:11], -v[12:13]
	v_fma_f64 v[60:61], v[60:61], -0.5, v[2:3]
	v_fma_f64 v[2:3], v[62:63], -0.5, v[2:3]
	v_add_f64_e64 v[62:63], v[30:31], -v[34:35]
	v_fma_f64 v[64:65], v[64:65], -0.5, v[48:49]
	;; [unrolled: 3-line block ×3, first 2 shown]
	v_fma_f64 v[50:51], v[70:71], -0.5, v[50:51]
	v_add_f64_e64 v[70:71], v[8:9], -v[10:11]
	v_add_f64_e64 v[8:9], v[10:11], -v[8:9]
	v_add_f64_e32 v[10:11], v[72:73], v[10:11]
	v_add_f64_e32 v[26:27], v[132:133], v[26:27]
	;; [unrolled: 1-line block ×6, first 2 shown]
	v_fma_f64 v[72:73], v[74:75], s[10:11], v[56:57]
	v_fma_f64 v[56:57], v[74:75], s[12:13], v[56:57]
	;; [unrolled: 1-line block ×16, first 2 shown]
	v_add_f64_e32 v[143:144], v[70:71], v[143:144]
	v_add_f64_e32 v[8:9], v[8:9], v[145:146]
	;; [unrolled: 1-line block ×9, first 2 shown]
	v_fma_f64 v[26:27], v[76:77], s[0:1], v[72:73]
	v_fma_f64 v[28:29], v[76:77], s[8:9], v[56:57]
	;; [unrolled: 1-line block ×16, first 2 shown]
	v_add_f64_e32 v[48:49], v[10:11], v[16:17]
	v_add_f64_e32 v[50:51], v[12:13], v[22:23]
	;; [unrolled: 1-line block ×4, first 2 shown]
	v_fma_f64 v[60:61], v[143:144], s[14:15], v[26:27]
	v_fma_f64 v[64:65], v[143:144], s[14:15], v[28:29]
	;; [unrolled: 1-line block ×16, first 2 shown]
	ds_store_b128 v7, v[48:51]
	ds_store_b128 v7, v[60:63] offset:160
	ds_store_b128 v7, v[52:55] offset:320
	;; [unrolled: 1-line block ×4, first 2 shown]
	ds_store_b128 v5, v[68:71]
	ds_store_b128 v5, v[72:75] offset:160
	ds_store_b128 v5, v[132:135] offset:320
	;; [unrolled: 1-line block ×4, first 2 shown]
	global_wb scope:SCOPE_SE
	s_wait_dscnt 0x0
	s_barrier_signal -1
	s_barrier_wait -1
	global_inv scope:SCOPE_SE
	s_and_saveexec_b32 s0, vcc_lo
	s_cbranch_execz .LBB0_7
; %bb.6:
	ds_load_b128 v[48:51], v255
	ds_load_b128 v[60:63], v255 offset:800
	ds_load_b128 v[52:55], v255 offset:1600
	;; [unrolled: 1-line block ×12, first 2 shown]
.LBB0_7:
	s_wait_alu 0xfffe
	s_or_b32 exec_lo, exec_lo, s0
	s_delay_alu instid0(SALU_CYCLE_1)
	s_mov_b32 s33, exec_lo
	scratch_load_b32 v205, off, off         ; 4-byte Folded Reload
	s_and_b32 s0, s33, vcc_lo
	s_wait_alu 0xfffe
	s_mov_b32 exec_lo, s0
	s_cbranch_execz .LBB0_9
; %bb.8:
	s_wait_dscnt 0xb
	v_mul_f64_e32 v[0:1], v[46:47], v[60:61]
	s_mov_b32 s35, 0x3fddbe06
	s_mov_b32 s34, 0x4267c47c
	;; [unrolled: 1-line block ×14, first 2 shown]
	s_wait_alu 0xfffe
	s_mov_b32 s28, s18
	s_mov_b32 s24, s30
	;; [unrolled: 1-line block ×16, first 2 shown]
	s_delay_alu instid0(VALU_DEP_1) | instskip(SKIP_1) | instid1(VALU_DEP_1)
	v_fma_f64 v[141:142], v[44:45], v[62:63], -v[0:1]
	v_mul_f64_e32 v[0:1], v[46:47], v[62:63]
	v_fma_f64 v[143:144], v[44:45], v[60:61], v[0:1]
	s_wait_dscnt 0x6
	v_mul_f64_e32 v[0:1], v[118:119], v[74:75]
	s_delay_alu instid0(VALU_DEP_1) | instskip(SKIP_1) | instid1(VALU_DEP_1)
	v_fma_f64 v[44:45], v[116:117], v[72:73], v[0:1]
	v_mul_f64_e32 v[0:1], v[118:119], v[72:73]
	v_fma_f64 v[60:61], v[116:117], v[74:75], -v[0:1]
	s_wait_dscnt 0x5
	v_mul_f64_e32 v[0:1], v[122:123], v[134:135]
	s_delay_alu instid0(VALU_DEP_1) | instskip(SKIP_1) | instid1(VALU_DEP_2)
	v_fma_f64 v[46:47], v[120:121], v[132:133], v[0:1]
	v_mul_f64_e32 v[0:1], v[122:123], v[132:133]
	v_add_f64_e32 v[175:176], v[44:45], v[46:47]
	s_delay_alu instid0(VALU_DEP_2) | instskip(SKIP_1) | instid1(VALU_DEP_2)
	v_fma_f64 v[62:63], v[120:121], v[134:135], -v[0:1]
	v_mul_f64_e32 v[0:1], v[110:111], v[70:71]
	v_add_f64_e32 v[171:172], v[60:61], v[62:63]
	s_delay_alu instid0(VALU_DEP_2) | instskip(SKIP_1) | instid1(VALU_DEP_1)
	v_fma_f64 v[72:73], v[108:109], v[68:69], v[0:1]
	v_mul_f64_e32 v[0:1], v[110:111], v[68:69]
	v_fma_f64 v[74:75], v[108:109], v[70:71], -v[0:1]
	s_wait_dscnt 0x4
	v_mul_f64_e32 v[0:1], v[114:115], v[138:139]
	s_delay_alu instid0(VALU_DEP_1) | instskip(SKIP_1) | instid1(VALU_DEP_1)
	v_fma_f64 v[68:69], v[112:113], v[136:137], v[0:1]
	v_mul_f64_e32 v[0:1], v[114:115], v[136:137]
	v_fma_f64 v[70:71], v[112:113], v[138:139], -v[0:1]
	v_mul_f64_e32 v[0:1], v[98:99], v[66:67]
	s_delay_alu instid0(VALU_DEP_1) | instskip(SKIP_1) | instid1(VALU_DEP_1)
	v_fma_f64 v[108:109], v[96:97], v[64:65], v[0:1]
	v_mul_f64_e32 v[0:1], v[98:99], v[64:65]
	v_fma_f64 v[96:97], v[96:97], v[66:67], -v[0:1]
	s_wait_dscnt 0x3
	v_mul_f64_e32 v[0:1], v[102:103], v[78:79]
	s_delay_alu instid0(VALU_DEP_1) | instskip(SKIP_1) | instid1(VALU_DEP_1)
	v_fma_f64 v[64:65], v[100:101], v[76:77], v[0:1]
	v_mul_f64_e32 v[0:1], v[102:103], v[76:77]
	v_fma_f64 v[66:67], v[100:101], v[78:79], -v[0:1]
	v_mul_f64_e32 v[0:1], v[90:91], v[58:59]
	s_delay_alu instid0(VALU_DEP_4) | instskip(NEXT) | instid1(VALU_DEP_3)
	v_add_f64_e64 v[100:101], v[108:109], -v[64:65]
	v_add_f64_e32 v[155:156], v[96:97], v[66:67]
	s_delay_alu instid0(VALU_DEP_3) | instskip(SKIP_1) | instid1(VALU_DEP_4)
	v_fma_f64 v[78:79], v[88:89], v[56:57], v[0:1]
	v_mul_f64_e32 v[0:1], v[90:91], v[56:57]
	v_mul_f64_e32 v[193:194], s[26:27], v[100:101]
	s_delay_alu instid0(VALU_DEP_2) | instskip(SKIP_2) | instid1(VALU_DEP_1)
	v_fma_f64 v[88:89], v[88:89], v[58:59], -v[0:1]
	s_wait_dscnt 0x2
	v_mul_f64_e32 v[0:1], v[94:95], v[130:131]
	v_fma_f64 v[56:57], v[92:93], v[128:129], v[0:1]
	v_mul_f64_e32 v[0:1], v[94:95], v[128:129]
	v_add_f64_e64 v[94:95], v[96:97], -v[66:67]
	s_delay_alu instid0(VALU_DEP_3) | instskip(NEXT) | instid1(VALU_DEP_3)
	v_add_f64_e64 v[118:119], v[78:79], -v[56:57]
	v_fma_f64 v[58:59], v[92:93], v[130:131], -v[0:1]
	v_mul_f64_e32 v[0:1], v[82:83], v[54:55]
	s_delay_alu instid0(VALU_DEP_4)
	v_mul_f64_e32 v[110:111], s[34:35], v[94:95]
	v_add_f64_e32 v[153:154], v[78:79], v[56:57]
	v_mul_f64_e32 v[159:160], s[18:19], v[94:95]
	v_mul_f64_e32 v[195:196], s[26:27], v[94:95]
	v_mul_f64_e32 v[112:113], s[34:35], v[118:119]
	v_add_f64_e64 v[116:117], v[88:89], -v[58:59]
	v_fma_f64 v[90:91], v[80:81], v[52:53], v[0:1]
	v_mul_f64_e32 v[0:1], v[82:83], v[52:53]
	v_add_f64_e64 v[82:83], v[44:45], -v[46:47]
	v_add_f64_e32 v[151:152], v[88:89], v[58:59]
	v_mul_f64_e32 v[114:115], s[34:35], v[116:117]
	s_wait_alu 0xfffe
	v_mul_f64_e32 v[191:192], s[24:25], v[116:117]
	v_fma_f64 v[80:81], v[80:81], v[54:55], -v[0:1]
	s_wait_dscnt 0x1
	v_mul_f64_e32 v[0:1], v[86:87], v[126:127]
	v_mul_f64_e32 v[92:93], s[34:35], v[82:83]
	;; [unrolled: 1-line block ×6, first 2 shown]
	v_fma_f64 v[52:53], v[84:85], v[124:125], v[0:1]
	v_mul_f64_e32 v[0:1], v[86:87], v[124:125]
	v_add_f64_e64 v[86:87], v[60:61], -v[62:63]
	s_delay_alu instid0(VALU_DEP_2) | instskip(SKIP_3) | instid1(VALU_DEP_4)
	v_fma_f64 v[76:77], v[84:85], v[126:127], -v[0:1]
	s_wait_dscnt 0x0
	v_mul_f64_e32 v[0:1], v[42:43], v[106:107]
	v_add_f64_e64 v[84:85], v[72:73], -v[68:69]
	v_mul_f64_e32 v[98:99], s[34:35], v[86:87]
	v_mul_f64_e32 v[177:178], s[30:31], v[86:87]
	v_add_f64_e64 v[102:103], v[80:81], -v[76:77]
	v_fma_f64 v[54:55], v[40:41], v[104:105], v[0:1]
	v_mul_f64_e32 v[0:1], v[42:43], v[104:105]
	v_add_f64_e64 v[104:105], v[90:91], -v[52:53]
	v_add_f64_e64 v[42:43], v[74:75], -v[70:71]
	v_mul_f64_e32 v[8:9], s[34:35], v[84:85]
	v_mul_f64_e32 v[163:164], s[26:27], v[84:85]
	;; [unrolled: 1-line block ×5, first 2 shown]
	v_add_f64_e32 v[128:129], v[143:144], v[54:55]
	v_fma_f64 v[40:41], v[40:41], v[106:107], -v[0:1]
	v_add_f64_e64 v[0:1], v[143:144], -v[54:55]
	v_mul_f64_e32 v[4:5], s[34:35], v[104:105]
	v_mul_f64_e32 v[10:11], s[34:35], v[42:43]
	;; [unrolled: 1-line block ×3, first 2 shown]
	s_mov_b32 s35, 0xbfddbe06
	v_mul_f64_e32 v[167:168], s[26:27], v[42:43]
	v_mul_f64_e32 v[181:182], s[28:29], v[42:43]
	;; [unrolled: 1-line block ×3, first 2 shown]
	v_add_f64_e32 v[20:21], v[141:142], v[40:41]
	v_mul_f64_e32 v[2:3], s[20:21], v[0:1]
	v_mul_f64_e32 v[12:13], s[22:23], v[0:1]
	;; [unrolled: 1-line block ×5, first 2 shown]
	s_wait_alu 0xfffe
	v_mul_f64_e32 v[0:1], s[34:35], v[0:1]
	v_fma_f64 v[22:23], v[20:21], s[14:15], v[2:3]
	v_fma_f64 v[2:3], v[20:21], s[14:15], -v[2:3]
	v_fma_f64 v[24:25], v[20:21], s[8:9], v[12:13]
	v_fma_f64 v[12:13], v[20:21], s[8:9], -v[12:13]
	;; [unrolled: 2-line block ×6, first 2 shown]
	v_add_f64_e64 v[20:21], v[141:142], -v[40:41]
	v_add_f64_e32 v[22:23], v[50:51], v[22:23]
	v_add_f64_e32 v[24:25], v[50:51], v[24:25]
	;; [unrolled: 1-line block ×9, first 2 shown]
	v_mul_f64_e32 v[34:35], s[20:21], v[20:21]
	v_mul_f64_e32 v[120:121], s[22:23], v[20:21]
	;; [unrolled: 1-line block ×6, first 2 shown]
	s_mov_b32 s35, 0x3fcea1e5
	s_mov_b32 s34, s20
	v_fma_f64 v[130:131], v[128:129], s[14:15], -v[34:35]
	v_fma_f64 v[34:35], v[128:129], s[14:15], v[34:35]
	v_fma_f64 v[138:139], v[128:129], s[0:1], v[122:123]
	v_fma_f64 v[132:133], v[128:129], s[8:9], -v[120:121]
	v_fma_f64 v[147:148], v[128:129], s[12:13], -v[126:127]
	v_fma_f64 v[126:127], v[128:129], s[12:13], v[126:127]
	v_fma_f64 v[149:150], v[128:129], s[16:17], -v[20:21]
	v_fma_f64 v[134:135], v[128:129], s[8:9], v[120:121]
	v_fma_f64 v[136:137], v[128:129], s[0:1], -v[122:123]
	v_fma_f64 v[145:146], v[128:129], s[10:11], -v[124:125]
	v_fma_f64 v[124:125], v[128:129], s[10:11], v[124:125]
	v_fma_f64 v[20:21], v[128:129], s[16:17], v[20:21]
	v_add_f64_e32 v[122:123], v[48:49], v[143:144]
	v_add_f64_e32 v[120:121], v[50:51], v[141:142]
	v_add_f64_e32 v[128:129], v[48:49], v[130:131]
	v_add_f64_e32 v[34:35], v[48:49], v[34:35]
	v_add_f64_e32 v[143:144], v[48:49], v[138:139]
	v_add_f64_e32 v[132:133], v[48:49], v[132:133]
	v_add_f64_e32 v[147:148], v[48:49], v[147:148]
	v_add_f64_e32 v[138:139], v[48:49], v[126:127]
	v_add_f64_e32 v[126:127], v[48:49], v[149:150]
	v_add_f64_e32 v[149:150], v[80:81], v[76:77]
	v_add_f64_e32 v[134:135], v[48:49], v[134:135]
	v_add_f64_e32 v[141:142], v[48:49], v[136:137]
	v_add_f64_e32 v[145:146], v[48:49], v[145:146]
	v_add_f64_e32 v[136:137], v[48:49], v[124:125]
	v_add_f64_e32 v[124:125], v[50:51], v[32:33]
	v_add_f64_e32 v[32:33], v[50:51], v[0:1]
	v_add_f64_e32 v[20:21], v[48:49], v[20:21]
	v_mul_f64_e32 v[48:49], s[22:23], v[118:119]
	v_add_f64_e32 v[130:131], v[50:51], v[2:3]
	v_fma_f64 v[0:1], v[149:150], s[16:17], v[4:5]
	v_fma_f64 v[4:5], v[149:150], s[16:17], -v[4:5]
	s_delay_alu instid0(VALU_DEP_4) | instskip(NEXT) | instid1(VALU_DEP_3)
	v_fma_f64 v[50:51], v[151:152], s[8:9], v[48:49]
	v_add_f64_e32 v[0:1], v[0:1], v[22:23]
	v_add_f64_e32 v[22:23], v[90:91], v[52:53]
	s_delay_alu instid0(VALU_DEP_4) | instskip(SKIP_1) | instid1(VALU_DEP_4)
	v_add_f64_e32 v[4:5], v[4:5], v[130:131]
	v_mul_f64_e32 v[130:131], s[28:29], v[118:119]
	v_add_f64_e32 v[0:1], v[50:51], v[0:1]
	s_delay_alu instid0(VALU_DEP_4) | instskip(SKIP_2) | instid1(VALU_DEP_3)
	v_fma_f64 v[2:3], v[22:23], s[16:17], -v[6:7]
	v_mul_f64_e32 v[50:51], s[22:23], v[116:117]
	v_fma_f64 v[6:7], v[22:23], s[16:17], v[6:7]
	v_add_f64_e32 v[2:3], v[2:3], v[128:129]
	s_delay_alu instid0(VALU_DEP_3) | instskip(NEXT) | instid1(VALU_DEP_3)
	v_fma_f64 v[128:129], v[153:154], s[8:9], -v[50:51]
	v_add_f64_e32 v[6:7], v[6:7], v[34:35]
	v_fma_f64 v[34:35], v[151:152], s[8:9], -v[48:49]
	v_fma_f64 v[48:49], v[175:176], s[10:11], v[177:178]
	s_delay_alu instid0(VALU_DEP_4) | instskip(SKIP_1) | instid1(VALU_DEP_4)
	v_add_f64_e32 v[2:3], v[128:129], v[2:3]
	v_mul_f64_e32 v[128:129], s[18:19], v[100:101]
	v_add_f64_e32 v[4:5], v[34:35], v[4:5]
	v_fma_f64 v[34:35], v[153:154], s[8:9], v[50:51]
	v_fma_f64 v[50:51], v[151:152], s[12:13], v[130:131]
	s_delay_alu instid0(VALU_DEP_4) | instskip(NEXT) | instid1(VALU_DEP_3)
	v_fma_f64 v[157:158], v[155:156], s[12:13], v[128:129]
	v_add_f64_e32 v[6:7], v[34:35], v[6:7]
	v_fma_f64 v[34:35], v[155:156], s[12:13], -v[128:129]
	v_mul_f64_e32 v[128:129], s[30:31], v[102:103]
	s_delay_alu instid0(VALU_DEP_4) | instskip(SKIP_1) | instid1(VALU_DEP_4)
	v_add_f64_e32 v[0:1], v[157:158], v[0:1]
	v_add_f64_e32 v[157:158], v[108:109], v[64:65]
	;; [unrolled: 1-line block ×3, first 2 shown]
	s_delay_alu instid0(VALU_DEP_2) | instskip(SKIP_3) | instid1(VALU_DEP_3)
	v_fma_f64 v[161:162], v[157:158], s[12:13], -v[159:160]
	v_fma_f64 v[34:35], v[157:158], s[12:13], v[159:160]
	s_wait_alu 0xfffe
	v_mul_f64_e32 v[159:160], s[34:35], v[100:101]
	v_add_f64_e32 v[2:3], v[161:162], v[2:3]
	v_add_f64_e32 v[161:162], v[74:75], v[70:71]
	s_delay_alu instid0(VALU_DEP_4) | instskip(NEXT) | instid1(VALU_DEP_2)
	v_add_f64_e32 v[6:7], v[34:35], v[6:7]
	v_fma_f64 v[165:166], v[161:162], s[0:1], v[163:164]
	v_fma_f64 v[34:35], v[161:162], s[0:1], -v[163:164]
	v_mul_f64_e32 v[163:164], s[34:35], v[94:95]
	s_delay_alu instid0(VALU_DEP_3) | instskip(SKIP_1) | instid1(VALU_DEP_4)
	v_add_f64_e32 v[0:1], v[165:166], v[0:1]
	v_add_f64_e32 v[165:166], v[72:73], v[68:69]
	;; [unrolled: 1-line block ×3, first 2 shown]
	s_delay_alu instid0(VALU_DEP_2) | instskip(SKIP_3) | instid1(VALU_DEP_4)
	v_fma_f64 v[34:35], v[165:166], s[0:1], v[167:168]
	v_fma_f64 v[169:170], v[165:166], s[0:1], -v[167:168]
	v_mul_f64_e32 v[167:168], s[26:27], v[82:83]
	v_fma_f64 v[82:83], v[171:172], s[12:13], -v[203:204]
	v_add_f64_e32 v[34:35], v[34:35], v[6:7]
	v_fma_f64 v[6:7], v[171:172], s[10:11], -v[173:174]
	v_add_f64_e32 v[169:170], v[169:170], v[2:3]
	v_fma_f64 v[2:3], v[171:172], s[10:11], v[173:174]
	s_delay_alu instid0(VALU_DEP_3) | instskip(SKIP_2) | instid1(VALU_DEP_4)
	v_add_f64_e32 v[6:7], v[6:7], v[4:5]
	v_add_f64_e32 v[4:5], v[48:49], v[34:35]
	v_mul_f64_e32 v[34:35], s[30:31], v[104:105]
	v_add_f64_e32 v[2:3], v[2:3], v[0:1]
	v_fma_f64 v[0:1], v[175:176], s[10:11], -v[177:178]
	s_delay_alu instid0(VALU_DEP_3) | instskip(SKIP_1) | instid1(VALU_DEP_3)
	v_fma_f64 v[48:49], v[149:150], s[10:11], v[34:35]
	v_fma_f64 v[34:35], v[149:150], s[10:11], -v[34:35]
	v_add_f64_e32 v[0:1], v[0:1], v[169:170]
	s_delay_alu instid0(VALU_DEP_3) | instskip(SKIP_1) | instid1(VALU_DEP_4)
	v_add_f64_e32 v[24:25], v[48:49], v[24:25]
	v_fma_f64 v[48:49], v[22:23], s[10:11], -v[128:129]
	v_add_f64_e32 v[12:13], v[34:35], v[12:13]
	v_fma_f64 v[34:35], v[22:23], s[10:11], v[128:129]
	v_fma_f64 v[128:129], v[151:152], s[12:13], -v[130:131]
	v_add_f64_e32 v[24:25], v[50:51], v[24:25]
	v_add_f64_e32 v[48:49], v[48:49], v[132:133]
	v_mul_f64_e32 v[132:133], s[28:29], v[116:117]
	v_add_f64_e32 v[34:35], v[34:35], v[134:135]
	v_add_f64_e32 v[12:13], v[128:129], v[12:13]
	s_delay_alu instid0(VALU_DEP_3) | instskip(SKIP_1) | instid1(VALU_DEP_2)
	v_fma_f64 v[50:51], v[153:154], s[12:13], -v[132:133]
	v_fma_f64 v[128:129], v[153:154], s[12:13], v[132:133]
	v_add_f64_e32 v[48:49], v[50:51], v[48:49]
	v_fma_f64 v[50:51], v[155:156], s[14:15], v[159:160]
	s_delay_alu instid0(VALU_DEP_3)
	v_add_f64_e32 v[34:35], v[128:129], v[34:35]
	v_fma_f64 v[128:129], v[155:156], s[14:15], -v[159:160]
	v_mul_f64_e32 v[159:160], s[36:37], v[100:101]
	v_mul_f64_e32 v[100:101], s[24:25], v[100:101]
	v_add_f64_e32 v[24:25], v[50:51], v[24:25]
	v_fma_f64 v[50:51], v[157:158], s[14:15], -v[163:164]
	v_add_f64_e32 v[12:13], v[128:129], v[12:13]
	v_fma_f64 v[128:129], v[157:158], s[14:15], v[163:164]
	v_mul_f64_e32 v[163:164], s[36:37], v[94:95]
	v_mul_f64_e32 v[94:95], s[24:25], v[94:95]
	v_add_f64_e32 v[48:49], v[50:51], v[48:49]
	v_fma_f64 v[50:51], v[161:162], s[16:17], v[8:9]
	v_fma_f64 v[8:9], v[161:162], s[16:17], -v[8:9]
	v_add_f64_e32 v[34:35], v[128:129], v[34:35]
	s_delay_alu instid0(VALU_DEP_3) | instskip(SKIP_1) | instid1(VALU_DEP_4)
	v_add_f64_e32 v[24:25], v[50:51], v[24:25]
	v_fma_f64 v[50:51], v[165:166], s[16:17], -v[10:11]
	v_add_f64_e32 v[8:9], v[8:9], v[12:13]
	v_fma_f64 v[10:11], v[165:166], s[16:17], v[10:11]
	v_fma_f64 v[12:13], v[171:172], s[0:1], -v[167:168]
	s_delay_alu instid0(VALU_DEP_4) | instskip(SKIP_1) | instid1(VALU_DEP_4)
	v_add_f64_e32 v[48:49], v[50:51], v[48:49]
	v_fma_f64 v[50:51], v[171:172], s[0:1], v[167:168]
	v_add_f64_e32 v[10:11], v[10:11], v[34:35]
	s_delay_alu instid0(VALU_DEP_4)
	v_add_f64_e32 v[130:131], v[12:13], v[8:9]
	v_mul_f64_e32 v[8:9], s[26:27], v[104:105]
	v_mul_f64_e32 v[12:13], s[26:27], v[102:103]
	v_mul_f64_e32 v[167:168], s[30:31], v[84:85]
	v_add_f64_e32 v[50:51], v[50:51], v[24:25]
	v_mul_f64_e32 v[24:25], s[26:27], v[86:87]
	s_delay_alu instid0(VALU_DEP_1) | instskip(SKIP_1) | instid1(VALU_DEP_2)
	v_fma_f64 v[169:170], v[175:176], s[0:1], -v[24:25]
	v_fma_f64 v[24:25], v[175:176], s[0:1], v[24:25]
	v_add_f64_e32 v[48:49], v[169:170], v[48:49]
	s_delay_alu instid0(VALU_DEP_2)
	v_add_f64_e32 v[128:129], v[24:25], v[10:11]
	v_fma_f64 v[10:11], v[149:150], s[0:1], -v[8:9]
	v_mul_f64_e32 v[24:25], s[20:21], v[118:119]
	v_mul_f64_e32 v[169:170], s[30:31], v[42:43]
	s_mov_b32 s31, 0x3fedeba7
	s_mov_b32 s30, s26
	v_mul_f64_e32 v[42:43], s[34:35], v[42:43]
	s_wait_alu 0xfffe
	v_mul_f64_e32 v[173:174], s[30:31], v[118:119]
	v_mul_f64_e32 v[177:178], s[30:31], v[116:117]
	v_fma_f64 v[8:9], v[149:150], s[0:1], v[8:9]
	v_add_f64_e32 v[10:11], v[10:11], v[18:19]
	v_fma_f64 v[34:35], v[151:152], s[14:15], -v[24:25]
	v_fma_f64 v[18:19], v[22:23], s[0:1], v[12:13]
	s_delay_alu instid0(VALU_DEP_4) | instskip(NEXT) | instid1(VALU_DEP_3)
	v_add_f64_e32 v[8:9], v[8:9], v[30:31]
	v_add_f64_e32 v[10:11], v[34:35], v[10:11]
	v_mul_f64_e32 v[34:35], s[20:21], v[116:117]
	s_delay_alu instid0(VALU_DEP_4) | instskip(SKIP_1) | instid1(VALU_DEP_3)
	v_add_f64_e32 v[18:19], v[18:19], v[138:139]
	v_fma_f64 v[116:117], v[153:154], s[10:11], v[191:192]
	v_fma_f64 v[132:133], v[153:154], s[14:15], v[34:35]
	s_delay_alu instid0(VALU_DEP_1) | instskip(SKIP_1) | instid1(VALU_DEP_1)
	v_add_f64_e32 v[18:19], v[132:133], v[18:19]
	v_fma_f64 v[132:133], v[155:156], s[8:9], -v[159:160]
	v_add_f64_e32 v[10:11], v[132:133], v[10:11]
	v_fma_f64 v[132:133], v[157:158], s[8:9], v[163:164]
	s_delay_alu instid0(VALU_DEP_1) | instskip(SKIP_1) | instid1(VALU_DEP_1)
	v_add_f64_e32 v[18:19], v[132:133], v[18:19]
	v_fma_f64 v[132:133], v[161:162], s[10:11], -v[167:168]
	v_add_f64_e32 v[10:11], v[132:133], v[10:11]
	;; [unrolled: 5-line block ×3, first 2 shown]
	v_fma_f64 v[10:11], v[175:176], s[16:17], v[98:99]
	s_delay_alu instid0(VALU_DEP_1) | instskip(SKIP_1) | instid1(VALU_DEP_1)
	v_add_f64_e32 v[132:133], v[10:11], v[18:19]
	v_mul_f64_e32 v[10:11], s[20:21], v[104:105]
	v_fma_f64 v[18:19], v[149:150], s[14:15], -v[10:11]
	v_fma_f64 v[10:11], v[149:150], s[14:15], v[10:11]
	s_delay_alu instid0(VALU_DEP_2) | instskip(SKIP_1) | instid1(VALU_DEP_3)
	v_add_f64_e32 v[16:17], v[18:19], v[16:17]
	v_mul_f64_e32 v[18:19], s[20:21], v[102:103]
	v_add_f64_e32 v[10:11], v[10:11], v[28:29]
	s_delay_alu instid0(VALU_DEP_2) | instskip(NEXT) | instid1(VALU_DEP_1)
	v_fma_f64 v[138:139], v[22:23], s[14:15], v[18:19]
	v_add_f64_e32 v[136:137], v[138:139], v[136:137]
	v_fma_f64 v[138:139], v[151:152], s[0:1], -v[173:174]
	s_delay_alu instid0(VALU_DEP_1) | instskip(SKIP_1) | instid1(VALU_DEP_1)
	v_add_f64_e32 v[16:17], v[138:139], v[16:17]
	v_fma_f64 v[138:139], v[153:154], s[0:1], v[177:178]
	v_add_f64_e32 v[136:137], v[138:139], v[136:137]
	v_fma_f64 v[138:139], v[155:156], s[16:17], -v[106:107]
	s_delay_alu instid0(VALU_DEP_1) | instskip(SKIP_1) | instid1(VALU_DEP_1)
	v_add_f64_e32 v[16:17], v[138:139], v[16:17]
	;; [unrolled: 5-line block ×4, first 2 shown]
	v_mul_f64_e32 v[16:17], s[22:23], v[86:87]
	v_fma_f64 v[185:186], v[175:176], s[8:9], v[16:17]
	v_fma_f64 v[16:17], v[175:176], s[8:9], -v[16:17]
	s_delay_alu instid0(VALU_DEP_2) | instskip(SKIP_1) | instid1(VALU_DEP_1)
	v_add_f64_e32 v[136:137], v[185:186], v[136:137]
	v_mul_f64_e32 v[185:186], s[28:29], v[104:105]
	v_fma_f64 v[187:188], v[149:150], s[12:13], -v[185:186]
	s_delay_alu instid0(VALU_DEP_1) | instskip(SKIP_2) | instid1(VALU_DEP_2)
	v_add_f64_e32 v[32:33], v[187:188], v[32:33]
	v_mul_f64_e32 v[187:188], s[28:29], v[102:103]
	v_mul_f64_e32 v[102:103], s[36:37], v[102:103]
	v_fma_f64 v[189:190], v[22:23], s[12:13], v[187:188]
	s_delay_alu instid0(VALU_DEP_1) | instskip(SKIP_1) | instid1(VALU_DEP_2)
	v_add_f64_e32 v[20:21], v[189:190], v[20:21]
	v_mul_f64_e32 v[189:190], s[24:25], v[118:119]
	v_add_f64_e32 v[20:21], v[116:117], v[20:21]
	s_delay_alu instid0(VALU_DEP_2) | instskip(SKIP_1) | instid1(VALU_DEP_2)
	v_fma_f64 v[118:119], v[151:152], s[10:11], -v[189:190]
	v_fma_f64 v[116:117], v[155:156], s[0:1], -v[193:194]
	v_add_f64_e32 v[32:33], v[118:119], v[32:33]
	s_delay_alu instid0(VALU_DEP_1) | instskip(SKIP_1) | instid1(VALU_DEP_1)
	v_add_f64_e32 v[32:33], v[116:117], v[32:33]
	v_fma_f64 v[116:117], v[157:158], s[0:1], v[195:196]
	v_add_f64_e32 v[20:21], v[116:117], v[20:21]
	v_fma_f64 v[116:117], v[161:162], s[8:9], -v[197:198]
	s_delay_alu instid0(VALU_DEP_1) | instskip(SKIP_1) | instid1(VALU_DEP_1)
	v_add_f64_e32 v[32:33], v[116:117], v[32:33]
	v_fma_f64 v[116:117], v[165:166], s[8:9], v[199:200]
	v_add_f64_e32 v[20:21], v[116:117], v[20:21]
	v_fma_f64 v[116:117], v[171:172], s[14:15], -v[201:202]
	s_delay_alu instid0(VALU_DEP_1) | instskip(SKIP_2) | instid1(VALU_DEP_2)
	v_add_f64_e32 v[118:119], v[116:117], v[32:33]
	v_mul_f64_e32 v[32:33], s[20:21], v[86:87]
	v_mul_f64_e32 v[86:87], s[18:19], v[86:87]
	v_fma_f64 v[116:117], v[175:176], s[14:15], v[32:33]
	s_delay_alu instid0(VALU_DEP_1) | instskip(SKIP_1) | instid1(VALU_DEP_1)
	v_add_f64_e32 v[116:117], v[116:117], v[20:21]
	v_mul_f64_e32 v[20:21], s[36:37], v[104:105]
	v_fma_f64 v[104:105], v[149:150], s[8:9], -v[20:21]
	s_delay_alu instid0(VALU_DEP_1) | instskip(SKIP_1) | instid1(VALU_DEP_1)
	v_add_f64_e32 v[14:15], v[104:105], v[14:15]
	v_fma_f64 v[104:105], v[22:23], s[8:9], v[102:103]
	v_add_f64_e32 v[104:105], v[104:105], v[143:144]
	v_fma_f64 v[143:144], v[151:152], s[16:17], -v[112:113]
	s_delay_alu instid0(VALU_DEP_1) | instskip(SKIP_1) | instid1(VALU_DEP_1)
	v_add_f64_e32 v[14:15], v[143:144], v[14:15]
	v_fma_f64 v[143:144], v[153:154], s[16:17], v[114:115]
	v_add_f64_e32 v[104:105], v[143:144], v[104:105]
	;; [unrolled: 5-line block ×3, first 2 shown]
	v_mul_f64_e32 v[143:144], s[34:35], v[84:85]
	s_delay_alu instid0(VALU_DEP_1) | instskip(NEXT) | instid1(VALU_DEP_1)
	v_fma_f64 v[84:85], v[161:162], s[14:15], -v[143:144]
	v_add_f64_e32 v[14:15], v[84:85], v[14:15]
	v_fma_f64 v[84:85], v[165:166], s[14:15], v[42:43]
	s_delay_alu instid0(VALU_DEP_1) | instskip(NEXT) | instid1(VALU_DEP_3)
	v_add_f64_e32 v[104:105], v[84:85], v[104:105]
	v_add_f64_e32 v[84:85], v[82:83], v[14:15]
	v_fma_f64 v[14:15], v[175:176], s[12:13], v[86:87]
	s_delay_alu instid0(VALU_DEP_1) | instskip(SKIP_2) | instid1(VALU_DEP_2)
	v_add_f64_e32 v[82:83], v[14:15], v[104:105]
	v_fma_f64 v[14:15], v[149:150], s[8:9], v[20:21]
	v_fma_f64 v[20:21], v[22:23], s[8:9], -v[102:103]
	v_add_f64_e32 v[14:15], v[14:15], v[26:27]
	v_fma_f64 v[26:27], v[151:152], s[16:17], v[112:113]
	s_delay_alu instid0(VALU_DEP_3) | instskip(NEXT) | instid1(VALU_DEP_2)
	v_add_f64_e32 v[20:21], v[20:21], v[141:142]
	v_add_f64_e32 v[14:15], v[26:27], v[14:15]
	v_fma_f64 v[26:27], v[153:154], s[16:17], -v[114:115]
	s_delay_alu instid0(VALU_DEP_1) | instskip(SKIP_1) | instid1(VALU_DEP_1)
	v_add_f64_e32 v[20:21], v[26:27], v[20:21]
	v_fma_f64 v[26:27], v[155:156], s[10:11], v[100:101]
	v_add_f64_e32 v[14:15], v[26:27], v[14:15]
	v_fma_f64 v[26:27], v[157:158], s[10:11], -v[94:95]
	s_delay_alu instid0(VALU_DEP_1) | instskip(SKIP_1) | instid1(VALU_DEP_1)
	v_add_f64_e32 v[20:21], v[26:27], v[20:21]
	v_fma_f64 v[26:27], v[161:162], s[14:15], v[143:144]
	v_add_f64_e32 v[14:15], v[26:27], v[14:15]
	v_fma_f64 v[26:27], v[165:166], s[14:15], -v[42:43]
	v_fma_f64 v[42:43], v[175:176], s[12:13], -v[86:87]
	s_delay_alu instid0(VALU_DEP_2) | instskip(SKIP_1) | instid1(VALU_DEP_2)
	v_add_f64_e32 v[20:21], v[26:27], v[20:21]
	v_fma_f64 v[26:27], v[171:172], s[12:13], v[203:204]
	v_add_f64_e32 v[100:101], v[42:43], v[20:21]
	s_delay_alu instid0(VALU_DEP_2) | instskip(SKIP_2) | instid1(VALU_DEP_2)
	v_add_f64_e32 v[102:103], v[26:27], v[14:15]
	v_fma_f64 v[14:15], v[22:23], s[14:15], -v[18:19]
	v_fma_f64 v[18:19], v[151:152], s[0:1], v[173:174]
	v_add_f64_e32 v[14:15], v[14:15], v[145:146]
	s_delay_alu instid0(VALU_DEP_2) | instskip(SKIP_1) | instid1(VALU_DEP_1)
	v_add_f64_e32 v[10:11], v[18:19], v[10:11]
	v_fma_f64 v[18:19], v[153:154], s[0:1], -v[177:178]
	v_add_f64_e32 v[14:15], v[18:19], v[14:15]
	v_fma_f64 v[18:19], v[155:156], s[16:17], v[106:107]
	s_delay_alu instid0(VALU_DEP_1) | instskip(SKIP_1) | instid1(VALU_DEP_1)
	v_add_f64_e32 v[10:11], v[18:19], v[10:11]
	v_fma_f64 v[18:19], v[157:158], s[16:17], -v[110:111]
	v_add_f64_e32 v[14:15], v[18:19], v[14:15]
	v_fma_f64 v[18:19], v[161:162], s[12:13], v[179:180]
	s_delay_alu instid0(VALU_DEP_1) | instskip(SKIP_1) | instid1(VALU_DEP_1)
	v_add_f64_e32 v[10:11], v[18:19], v[10:11]
	v_fma_f64 v[18:19], v[165:166], s[12:13], -v[181:182]
	v_add_f64_e32 v[14:15], v[18:19], v[14:15]
	v_fma_f64 v[18:19], v[171:172], s[8:9], v[183:184]
	s_delay_alu instid0(VALU_DEP_2) | instskip(NEXT) | instid1(VALU_DEP_2)
	v_add_f64_e32 v[104:105], v[16:17], v[14:15]
	v_add_f64_e32 v[106:107], v[18:19], v[10:11]
	v_fma_f64 v[10:11], v[22:23], s[0:1], -v[12:13]
	v_fma_f64 v[12:13], v[151:152], s[14:15], v[24:25]
	v_fma_f64 v[14:15], v[175:176], s[16:17], -v[98:99]
	v_fma_f64 v[16:17], v[155:156], s[0:1], v[193:194]
	v_fma_f64 v[18:19], v[157:158], s[0:1], -v[195:196]
	v_add_f64_e32 v[10:11], v[10:11], v[147:148]
	v_add_f64_e32 v[8:9], v[12:13], v[8:9]
	v_fma_f64 v[12:13], v[153:154], s[14:15], -v[34:35]
	s_delay_alu instid0(VALU_DEP_1) | instskip(SKIP_1) | instid1(VALU_DEP_1)
	v_add_f64_e32 v[10:11], v[12:13], v[10:11]
	v_fma_f64 v[12:13], v[155:156], s[8:9], v[159:160]
	v_add_f64_e32 v[8:9], v[12:13], v[8:9]
	v_fma_f64 v[12:13], v[157:158], s[8:9], -v[163:164]
	s_delay_alu instid0(VALU_DEP_1) | instskip(SKIP_1) | instid1(VALU_DEP_1)
	v_add_f64_e32 v[10:11], v[12:13], v[10:11]
	v_fma_f64 v[12:13], v[161:162], s[10:11], v[167:168]
	v_add_f64_e32 v[8:9], v[12:13], v[8:9]
	v_fma_f64 v[12:13], v[165:166], s[10:11], -v[169:170]
	s_delay_alu instid0(VALU_DEP_1) | instskip(SKIP_1) | instid1(VALU_DEP_2)
	v_add_f64_e32 v[10:11], v[12:13], v[10:11]
	v_fma_f64 v[12:13], v[171:172], s[16:17], v[92:93]
	v_add_f64_e32 v[92:93], v[14:15], v[10:11]
	s_delay_alu instid0(VALU_DEP_2) | instskip(SKIP_4) | instid1(VALU_DEP_4)
	v_add_f64_e32 v[94:95], v[12:13], v[8:9]
	v_add_f64_e32 v[8:9], v[120:121], v[80:81]
	;; [unrolled: 1-line block ×3, first 2 shown]
	v_fma_f64 v[12:13], v[151:152], s[10:11], v[189:190]
	v_fma_f64 v[14:15], v[153:154], s[10:11], -v[191:192]
	v_add_f64_e32 v[8:9], v[8:9], v[88:89]
	s_delay_alu instid0(VALU_DEP_4) | instskip(NEXT) | instid1(VALU_DEP_2)
	v_add_f64_e32 v[10:11], v[10:11], v[78:79]
	v_add_f64_e32 v[8:9], v[8:9], v[96:97]
	s_delay_alu instid0(VALU_DEP_2) | instskip(NEXT) | instid1(VALU_DEP_2)
	v_add_f64_e32 v[10:11], v[10:11], v[108:109]
	v_add_f64_e32 v[8:9], v[8:9], v[74:75]
	s_delay_alu instid0(VALU_DEP_2) | instskip(NEXT) | instid1(VALU_DEP_2)
	;; [unrolled: 3-line block ×8, first 2 shown]
	v_add_f64_e32 v[10:11], v[10:11], v[52:53]
	v_add_f64_e32 v[42:43], v[8:9], v[40:41]
	v_fma_f64 v[8:9], v[149:150], s[12:13], v[185:186]
	s_delay_alu instid0(VALU_DEP_3) | instskip(SKIP_1) | instid1(VALU_DEP_3)
	v_add_f64_e32 v[40:41], v[10:11], v[54:55]
	v_fma_f64 v[10:11], v[22:23], s[12:13], -v[187:188]
	v_add_f64_e32 v[8:9], v[8:9], v[124:125]
	ds_store_b128 v255, v[40:43]
	v_add_f64_e32 v[10:11], v[10:11], v[126:127]
	v_add_f64_e32 v[8:9], v[12:13], v[8:9]
	v_fma_f64 v[12:13], v[161:162], s[8:9], v[197:198]
	s_delay_alu instid0(VALU_DEP_3) | instskip(SKIP_1) | instid1(VALU_DEP_4)
	v_add_f64_e32 v[10:11], v[14:15], v[10:11]
	v_fma_f64 v[14:15], v[165:166], s[8:9], -v[199:200]
	v_add_f64_e32 v[8:9], v[16:17], v[8:9]
	v_fma_f64 v[16:17], v[171:172], s[14:15], v[201:202]
	s_delay_alu instid0(VALU_DEP_4) | instskip(SKIP_1) | instid1(VALU_DEP_4)
	v_add_f64_e32 v[10:11], v[18:19], v[10:11]
	v_fma_f64 v[18:19], v[175:176], s[14:15], -v[32:33]
	v_add_f64_e32 v[8:9], v[12:13], v[8:9]
	s_delay_alu instid0(VALU_DEP_3) | instskip(NEXT) | instid1(VALU_DEP_2)
	v_add_f64_e32 v[10:11], v[14:15], v[10:11]
	v_add_f64_e32 v[46:47], v[16:17], v[8:9]
	scratch_load_b32 v8, off, off offset:148 th:TH_LOAD_LU ; 4-byte Folded Reload
	v_add_f64_e32 v[44:45], v[18:19], v[10:11]
	s_wait_loadcnt 0x0
	v_lshl_add_u32 v8, v205, 4, v8
	ds_store_b128 v8, v[116:119] offset:800
	ds_store_b128 v8, v[132:135] offset:1600
	ds_store_b128 v8, v[136:139] offset:2400
	ds_store_b128 v8, v[82:85] offset:3200
	ds_store_b128 v8, v[128:131] offset:4000
	ds_store_b128 v8, v[4:7] offset:4800
	ds_store_b128 v8, v[0:3] offset:5600
	ds_store_b128 v8, v[48:51] offset:6400
	ds_store_b128 v8, v[100:103] offset:7200
	ds_store_b128 v8, v[104:107] offset:8000
	ds_store_b128 v8, v[92:95] offset:8800
	ds_store_b128 v8, v[44:47] offset:9600
.LBB0_9:
	s_or_b32 exec_lo, exec_lo, s33
	global_wb scope:SCOPE_SE
	s_wait_loadcnt_dscnt 0x0
	s_barrier_signal -1
	s_barrier_wait -1
	global_inv scope:SCOPE_SE
	ds_load_b128 v[0:3], v255
	ds_load_b128 v[4:7], v255 offset:1040
	ds_load_b128 v[40:43], v255 offset:2080
	;; [unrolled: 1-line block ×9, first 2 shown]
	s_clause 0x1
	scratch_load_b128 v[90:93], off, off offset:4 th:TH_LOAD_LU
	scratch_load_b128 v[36:39], off, off offset:152 th:TH_LOAD_LU
	v_mad_co_u64_u32 v[8:9], null, s6, v140, 0
	v_mad_co_u64_u32 v[10:11], null, s4, v205, 0
	s_mul_u64 s[0:1], s[4:5], 0x410
	s_delay_alu instid0(VALU_DEP_1) | instskip(NEXT) | instid1(VALU_DEP_1)
	v_mad_co_u64_u32 v[28:29], null, s7, v140, v[9:10]
	v_mov_b32_e32 v9, v28
	s_delay_alu instid0(VALU_DEP_1) | instskip(NEXT) | instid1(VALU_DEP_1)
	v_lshlrev_b64_e32 v[8:9], 4, v[8:9]
	v_add_co_u32 v8, vcc_lo, s2, v8
	s_wait_alu 0xfffd
	s_delay_alu instid0(VALU_DEP_2)
	v_add_co_ci_u32_e32 v9, vcc_lo, s3, v9, vcc_lo
	s_mov_b32 s2, 0x7f9b2ce6
	s_mov_b32 s3, 0x3f5934c6
	s_wait_loadcnt_dscnt 0x109
	v_mul_f64_e32 v[12:13], v[92:93], v[2:3]
	v_mul_f64_e32 v[14:15], v[92:93], v[0:1]
	scratch_load_b128 v[92:95], off, off offset:20 th:TH_LOAD_LU ; 16-byte Folded Reload
	s_wait_loadcnt_dscnt 0x100
	v_mul_f64_e32 v[86:87], v[38:39], v[70:71]
	v_mul_f64_e32 v[38:39], v[38:39], v[68:69]
	v_fma_f64 v[0:1], v[90:91], v[0:1], v[12:13]
	v_fma_f64 v[2:3], v[90:91], v[2:3], -v[14:15]
	v_mad_co_u64_u32 v[88:89], null, s5, v205, v[11:12]
	s_delay_alu instid0(VALU_DEP_4) | instskip(NEXT) | instid1(VALU_DEP_2)
	v_fma_f64 v[38:39], v[36:37], v[70:71], -v[38:39]
	v_mov_b32_e32 v11, v88
	s_delay_alu instid0(VALU_DEP_1)
	v_lshlrev_b64_e32 v[10:11], 4, v[10:11]
	s_wait_alu 0xfffe
	v_mul_f64_e32 v[0:1], s[2:3], v[0:1]
	v_mul_f64_e32 v[2:3], s[2:3], v[2:3]
	;; [unrolled: 1-line block ×3, first 2 shown]
	s_wait_loadcnt 0x0
	v_mul_f64_e32 v[16:17], v[94:95], v[6:7]
	v_mul_f64_e32 v[18:19], v[94:95], v[4:5]
	scratch_load_b128 v[94:97], off, off offset:36 th:TH_LOAD_LU ; 16-byte Folded Reload
	v_fma_f64 v[4:5], v[92:93], v[4:5], v[16:17]
	v_fma_f64 v[6:7], v[92:93], v[6:7], -v[18:19]
	s_delay_alu instid0(VALU_DEP_2) | instskip(NEXT) | instid1(VALU_DEP_2)
	v_mul_f64_e32 v[4:5], s[2:3], v[4:5]
	v_mul_f64_e32 v[6:7], s[2:3], v[6:7]
	s_wait_loadcnt 0x0
	v_mul_f64_e32 v[20:21], v[96:97], v[42:43]
	v_mul_f64_e32 v[22:23], v[96:97], v[40:41]
	scratch_load_b128 v[96:99], off, off offset:52 th:TH_LOAD_LU ; 16-byte Folded Reload
	v_fma_f64 v[12:13], v[94:95], v[40:41], v[20:21]
	v_fma_f64 v[14:15], v[94:95], v[42:43], -v[22:23]
	s_wait_loadcnt 0x0
	v_mul_f64_e32 v[24:25], v[98:99], v[46:47]
	v_mul_f64_e32 v[26:27], v[98:99], v[44:45]
	scratch_load_b128 v[98:101], off, off offset:68 th:TH_LOAD_LU ; 16-byte Folded Reload
	v_fma_f64 v[16:17], v[96:97], v[44:45], v[24:25]
	v_fma_f64 v[18:19], v[96:97], v[46:47], -v[26:27]
	v_fma_f64 v[44:45], v[36:37], v[68:69], v[86:87]
	v_add_co_u32 v46, vcc_lo, v8, v10
	s_wait_alu 0xfffd
	v_add_co_ci_u32_e32 v47, vcc_lo, v9, v11, vcc_lo
	v_mul_f64_e32 v[8:9], s[2:3], v[12:13]
	v_mul_f64_e32 v[10:11], s[2:3], v[14:15]
	v_mul_f64_e32 v[12:13], s[2:3], v[16:17]
	v_mul_f64_e32 v[14:15], s[2:3], v[18:19]
	v_mul_f64_e32 v[36:37], s[2:3], v[44:45]
	s_wait_loadcnt 0x0
	v_mul_f64_e32 v[29:30], v[100:101], v[50:51]
	v_mul_f64_e32 v[31:32], v[100:101], v[48:49]
	scratch_load_b128 v[100:103], off, off offset:84 th:TH_LOAD_LU ; 16-byte Folded Reload
	v_fma_f64 v[20:21], v[98:99], v[48:49], v[29:30]
	v_fma_f64 v[22:23], v[98:99], v[50:51], -v[31:32]
	v_add_co_u32 v48, vcc_lo, v46, s0
	s_wait_alu 0xfffd
	v_add_co_ci_u32_e32 v49, vcc_lo, s1, v47, vcc_lo
	s_delay_alu instid0(VALU_DEP_2) | instskip(SKIP_1) | instid1(VALU_DEP_2)
	v_add_co_u32 v50, vcc_lo, v48, s0
	s_wait_alu 0xfffd
	v_add_co_ci_u32_e32 v51, vcc_lo, s1, v49, vcc_lo
	v_mul_f64_e32 v[16:17], s[2:3], v[20:21]
	v_mul_f64_e32 v[18:19], s[2:3], v[22:23]
	s_wait_loadcnt 0x0
	v_mul_f64_e32 v[33:34], v[102:103], v[54:55]
	v_mul_f64_e32 v[72:73], v[102:103], v[52:53]
	scratch_load_b128 v[102:105], off, off offset:100 th:TH_LOAD_LU ; 16-byte Folded Reload
	v_fma_f64 v[24:25], v[100:101], v[52:53], v[33:34]
	v_fma_f64 v[26:27], v[100:101], v[54:55], -v[72:73]
	v_add_co_u32 v52, vcc_lo, v50, s0
	s_wait_alu 0xfffd
	v_add_co_ci_u32_e32 v53, vcc_lo, s1, v51, vcc_lo
	s_delay_alu instid0(VALU_DEP_4) | instskip(NEXT) | instid1(VALU_DEP_4)
	v_mul_f64_e32 v[20:21], s[2:3], v[24:25]
	v_mul_f64_e32 v[22:23], s[2:3], v[26:27]
	s_wait_loadcnt 0x0
	v_mul_f64_e32 v[74:75], v[104:105], v[58:59]
	v_mul_f64_e32 v[76:77], v[104:105], v[56:57]
	scratch_load_b128 v[104:107], off, off offset:116 th:TH_LOAD_LU ; 16-byte Folded Reload
	v_fma_f64 v[28:29], v[102:103], v[56:57], v[74:75]
	v_fma_f64 v[30:31], v[102:103], v[58:59], -v[76:77]
	s_delay_alu instid0(VALU_DEP_2) | instskip(NEXT) | instid1(VALU_DEP_2)
	v_mul_f64_e32 v[24:25], s[2:3], v[28:29]
	v_mul_f64_e32 v[26:27], s[2:3], v[30:31]
	s_wait_loadcnt 0x0
	v_mul_f64_e32 v[78:79], v[106:107], v[62:63]
	v_mul_f64_e32 v[80:81], v[106:107], v[60:61]
	scratch_load_b128 v[106:109], off, off offset:132 th:TH_LOAD_LU ; 16-byte Folded Reload
	v_fma_f64 v[32:33], v[104:105], v[60:61], v[78:79]
	v_fma_f64 v[34:35], v[104:105], v[62:63], -v[80:81]
	s_delay_alu instid0(VALU_DEP_2) | instskip(NEXT) | instid1(VALU_DEP_2)
	v_mul_f64_e32 v[28:29], s[2:3], v[32:33]
	v_mul_f64_e32 v[30:31], s[2:3], v[34:35]
	s_wait_loadcnt 0x0
	v_mul_f64_e32 v[82:83], v[108:109], v[66:67]
	v_mul_f64_e32 v[84:85], v[108:109], v[64:65]
	s_delay_alu instid0(VALU_DEP_2) | instskip(NEXT) | instid1(VALU_DEP_2)
	v_fma_f64 v[40:41], v[106:107], v[64:65], v[82:83]
	v_fma_f64 v[42:43], v[106:107], v[66:67], -v[84:85]
	s_delay_alu instid0(VALU_DEP_2) | instskip(NEXT) | instid1(VALU_DEP_2)
	v_mul_f64_e32 v[32:33], s[2:3], v[40:41]
	v_mul_f64_e32 v[34:35], s[2:3], v[42:43]
	v_add_co_u32 v40, vcc_lo, v52, s0
	s_wait_alu 0xfffd
	v_add_co_ci_u32_e32 v41, vcc_lo, s1, v53, vcc_lo
	s_clause 0x4
	global_store_b128 v[46:47], v[0:3], off
	global_store_b128 v[48:49], v[4:7], off
	;; [unrolled: 1-line block ×5, first 2 shown]
	v_add_co_u32 v42, vcc_lo, v40, s0
	s_wait_alu 0xfffd
	v_add_co_ci_u32_e32 v43, vcc_lo, s1, v41, vcc_lo
	s_delay_alu instid0(VALU_DEP_2) | instskip(SKIP_1) | instid1(VALU_DEP_2)
	v_add_co_u32 v44, vcc_lo, v42, s0
	s_wait_alu 0xfffd
	v_add_co_ci_u32_e32 v45, vcc_lo, s1, v43, vcc_lo
	s_delay_alu instid0(VALU_DEP_2) | instskip(SKIP_1) | instid1(VALU_DEP_2)
	;; [unrolled: 4-line block ×4, first 2 shown]
	v_add_co_u32 v0, vcc_lo, v56, s0
	s_wait_alu 0xfffd
	v_add_co_ci_u32_e32 v1, vcc_lo, s1, v57, vcc_lo
	global_store_b128 v[42:43], v[20:23], off
	global_store_b128 v[44:45], v[24:27], off
	;; [unrolled: 1-line block ×5, first 2 shown]
.LBB0_10:
	s_nop 0
	s_sendmsg sendmsg(MSG_DEALLOC_VGPRS)
	s_endpgm
	.section	.rodata,"a",@progbits
	.p2align	6, 0x0
	.amdhsa_kernel bluestein_single_back_len650_dim1_dp_op_CI_CI
		.amdhsa_group_segment_fixed_size 31200
		.amdhsa_private_segment_fixed_size 388
		.amdhsa_kernarg_size 104
		.amdhsa_user_sgpr_count 2
		.amdhsa_user_sgpr_dispatch_ptr 0
		.amdhsa_user_sgpr_queue_ptr 0
		.amdhsa_user_sgpr_kernarg_segment_ptr 1
		.amdhsa_user_sgpr_dispatch_id 0
		.amdhsa_user_sgpr_private_segment_size 0
		.amdhsa_wavefront_size32 1
		.amdhsa_uses_dynamic_stack 0
		.amdhsa_enable_private_segment 1
		.amdhsa_system_sgpr_workgroup_id_x 1
		.amdhsa_system_sgpr_workgroup_id_y 0
		.amdhsa_system_sgpr_workgroup_id_z 0
		.amdhsa_system_sgpr_workgroup_info 0
		.amdhsa_system_vgpr_workitem_id 0
		.amdhsa_next_free_vgpr 256
		.amdhsa_next_free_sgpr 46
		.amdhsa_reserve_vcc 1
		.amdhsa_float_round_mode_32 0
		.amdhsa_float_round_mode_16_64 0
		.amdhsa_float_denorm_mode_32 3
		.amdhsa_float_denorm_mode_16_64 3
		.amdhsa_fp16_overflow 0
		.amdhsa_workgroup_processor_mode 1
		.amdhsa_memory_ordered 1
		.amdhsa_forward_progress 0
		.amdhsa_round_robin_scheduling 0
		.amdhsa_exception_fp_ieee_invalid_op 0
		.amdhsa_exception_fp_denorm_src 0
		.amdhsa_exception_fp_ieee_div_zero 0
		.amdhsa_exception_fp_ieee_overflow 0
		.amdhsa_exception_fp_ieee_underflow 0
		.amdhsa_exception_fp_ieee_inexact 0
		.amdhsa_exception_int_div_zero 0
	.end_amdhsa_kernel
	.text
.Lfunc_end0:
	.size	bluestein_single_back_len650_dim1_dp_op_CI_CI, .Lfunc_end0-bluestein_single_back_len650_dim1_dp_op_CI_CI
                                        ; -- End function
	.section	.AMDGPU.csdata,"",@progbits
; Kernel info:
; codeLenInByte = 16596
; NumSgprs: 48
; NumVgprs: 256
; ScratchSize: 388
; MemoryBound: 0
; FloatMode: 240
; IeeeMode: 1
; LDSByteSize: 31200 bytes/workgroup (compile time only)
; SGPRBlocks: 5
; VGPRBlocks: 31
; NumSGPRsForWavesPerEU: 48
; NumVGPRsForWavesPerEU: 256
; Occupancy: 5
; WaveLimiterHint : 1
; COMPUTE_PGM_RSRC2:SCRATCH_EN: 1
; COMPUTE_PGM_RSRC2:USER_SGPR: 2
; COMPUTE_PGM_RSRC2:TRAP_HANDLER: 0
; COMPUTE_PGM_RSRC2:TGID_X_EN: 1
; COMPUTE_PGM_RSRC2:TGID_Y_EN: 0
; COMPUTE_PGM_RSRC2:TGID_Z_EN: 0
; COMPUTE_PGM_RSRC2:TIDIG_COMP_CNT: 0
	.text
	.p2alignl 7, 3214868480
	.fill 96, 4, 3214868480
	.type	__hip_cuid_e687e44443e7da62,@object ; @__hip_cuid_e687e44443e7da62
	.section	.bss,"aw",@nobits
	.globl	__hip_cuid_e687e44443e7da62
__hip_cuid_e687e44443e7da62:
	.byte	0                               ; 0x0
	.size	__hip_cuid_e687e44443e7da62, 1

	.ident	"AMD clang version 19.0.0git (https://github.com/RadeonOpenCompute/llvm-project roc-6.4.0 25133 c7fe45cf4b819c5991fe208aaa96edf142730f1d)"
	.section	".note.GNU-stack","",@progbits
	.addrsig
	.addrsig_sym __hip_cuid_e687e44443e7da62
	.amdgpu_metadata
---
amdhsa.kernels:
  - .args:
      - .actual_access:  read_only
        .address_space:  global
        .offset:         0
        .size:           8
        .value_kind:     global_buffer
      - .actual_access:  read_only
        .address_space:  global
        .offset:         8
        .size:           8
        .value_kind:     global_buffer
      - .actual_access:  read_only
        .address_space:  global
        .offset:         16
        .size:           8
        .value_kind:     global_buffer
      - .actual_access:  read_only
        .address_space:  global
        .offset:         24
        .size:           8
        .value_kind:     global_buffer
      - .actual_access:  read_only
        .address_space:  global
        .offset:         32
        .size:           8
        .value_kind:     global_buffer
      - .offset:         40
        .size:           8
        .value_kind:     by_value
      - .address_space:  global
        .offset:         48
        .size:           8
        .value_kind:     global_buffer
      - .address_space:  global
        .offset:         56
        .size:           8
        .value_kind:     global_buffer
      - .address_space:  global
        .offset:         64
        .size:           8
        .value_kind:     global_buffer
      - .address_space:  global
        .offset:         72
        .size:           8
        .value_kind:     global_buffer
      - .offset:         80
        .size:           4
        .value_kind:     by_value
      - .address_space:  global
        .offset:         88
        .size:           8
        .value_kind:     global_buffer
      - .address_space:  global
        .offset:         96
        .size:           8
        .value_kind:     global_buffer
    .group_segment_fixed_size: 31200
    .kernarg_segment_align: 8
    .kernarg_segment_size: 104
    .language:       OpenCL C
    .language_version:
      - 2
      - 0
    .max_flat_workgroup_size: 195
    .name:           bluestein_single_back_len650_dim1_dp_op_CI_CI
    .private_segment_fixed_size: 388
    .sgpr_count:     48
    .sgpr_spill_count: 0
    .symbol:         bluestein_single_back_len650_dim1_dp_op_CI_CI.kd
    .uniform_work_group_size: 1
    .uses_dynamic_stack: false
    .vgpr_count:     256
    .vgpr_spill_count: 96
    .wavefront_size: 32
    .workgroup_processor_mode: 1
amdhsa.target:   amdgcn-amd-amdhsa--gfx1201
amdhsa.version:
  - 1
  - 2
...

	.end_amdgpu_metadata
